;; amdgpu-corpus repo=ROCm/rocFFT kind=compiled arch=gfx1030 opt=O3
	.text
	.amdgcn_target "amdgcn-amd-amdhsa--gfx1030"
	.amdhsa_code_object_version 6
	.protected	fft_rtc_fwd_len1176_factors_2_2_2_3_7_7_wgs_56_tpt_56_halfLds_dp_op_CI_CI_sbrr_dirReg ; -- Begin function fft_rtc_fwd_len1176_factors_2_2_2_3_7_7_wgs_56_tpt_56_halfLds_dp_op_CI_CI_sbrr_dirReg
	.globl	fft_rtc_fwd_len1176_factors_2_2_2_3_7_7_wgs_56_tpt_56_halfLds_dp_op_CI_CI_sbrr_dirReg
	.p2align	8
	.type	fft_rtc_fwd_len1176_factors_2_2_2_3_7_7_wgs_56_tpt_56_halfLds_dp_op_CI_CI_sbrr_dirReg,@function
fft_rtc_fwd_len1176_factors_2_2_2_3_7_7_wgs_56_tpt_56_halfLds_dp_op_CI_CI_sbrr_dirReg: ; @fft_rtc_fwd_len1176_factors_2_2_2_3_7_7_wgs_56_tpt_56_halfLds_dp_op_CI_CI_sbrr_dirReg
; %bb.0:
	s_clause 0x2
	s_load_dwordx4 s[16:19], s[4:5], 0x18
	s_load_dwordx4 s[12:15], s[4:5], 0x0
	;; [unrolled: 1-line block ×3, first 2 shown]
	v_mul_u32_u24_e32 v2, 0x493, v0
	v_mov_b32_e32 v1, 0
	v_mov_b32_e32 v4, 0
	;; [unrolled: 1-line block ×3, first 2 shown]
	s_waitcnt lgkmcnt(0)
	s_load_dwordx2 s[20:21], s[16:17], 0x0
	s_load_dwordx2 s[2:3], s[18:19], 0x0
	v_cmp_lt_u64_e64 s0, s[14:15], 2
	v_add_nc_u32_sdwa v6, s6, v2 dst_sel:DWORD dst_unused:UNUSED_PAD src0_sel:DWORD src1_sel:WORD_1
	v_mov_b32_e32 v7, v1
	s_and_b32 vcc_lo, exec_lo, s0
	s_cbranch_vccnz .LBB0_8
; %bb.1:
	s_load_dwordx2 s[0:1], s[4:5], 0x10
	v_mov_b32_e32 v4, 0
	v_mov_b32_e32 v5, 0
	s_add_u32 s6, s18, 8
	s_addc_u32 s7, s19, 0
	s_add_u32 s22, s16, 8
	s_addc_u32 s23, s17, 0
	v_mov_b32_e32 v113, v5
	v_mov_b32_e32 v112, v4
	s_mov_b64 s[26:27], 1
	s_waitcnt lgkmcnt(0)
	s_add_u32 s24, s0, 8
	s_addc_u32 s25, s1, 0
.LBB0_2:                                ; =>This Inner Loop Header: Depth=1
	s_load_dwordx2 s[28:29], s[24:25], 0x0
                                        ; implicit-def: $vgpr114_vgpr115
	s_mov_b32 s0, exec_lo
	s_waitcnt lgkmcnt(0)
	v_or_b32_e32 v2, s29, v7
	v_cmpx_ne_u64_e32 0, v[1:2]
	s_xor_b32 s1, exec_lo, s0
	s_cbranch_execz .LBB0_4
; %bb.3:                                ;   in Loop: Header=BB0_2 Depth=1
	v_cvt_f32_u32_e32 v2, s28
	v_cvt_f32_u32_e32 v3, s29
	s_sub_u32 s0, 0, s28
	s_subb_u32 s30, 0, s29
	v_fmac_f32_e32 v2, 0x4f800000, v3
	v_rcp_f32_e32 v2, v2
	v_mul_f32_e32 v2, 0x5f7ffffc, v2
	v_mul_f32_e32 v3, 0x2f800000, v2
	v_trunc_f32_e32 v3, v3
	v_fmac_f32_e32 v2, 0xcf800000, v3
	v_cvt_u32_f32_e32 v3, v3
	v_cvt_u32_f32_e32 v2, v2
	v_mul_lo_u32 v8, s0, v3
	v_mul_hi_u32 v9, s0, v2
	v_mul_lo_u32 v10, s30, v2
	v_add_nc_u32_e32 v8, v9, v8
	v_mul_lo_u32 v9, s0, v2
	v_add_nc_u32_e32 v8, v8, v10
	v_mul_hi_u32 v10, v2, v9
	v_mul_lo_u32 v11, v2, v8
	v_mul_hi_u32 v12, v2, v8
	v_mul_hi_u32 v13, v3, v9
	v_mul_lo_u32 v9, v3, v9
	v_mul_hi_u32 v14, v3, v8
	v_mul_lo_u32 v8, v3, v8
	v_add_co_u32 v10, vcc_lo, v10, v11
	v_add_co_ci_u32_e32 v11, vcc_lo, 0, v12, vcc_lo
	v_add_co_u32 v9, vcc_lo, v10, v9
	v_add_co_ci_u32_e32 v9, vcc_lo, v11, v13, vcc_lo
	v_add_co_ci_u32_e32 v10, vcc_lo, 0, v14, vcc_lo
	v_add_co_u32 v8, vcc_lo, v9, v8
	v_add_co_ci_u32_e32 v9, vcc_lo, 0, v10, vcc_lo
	v_add_co_u32 v2, vcc_lo, v2, v8
	v_add_co_ci_u32_e32 v3, vcc_lo, v3, v9, vcc_lo
	v_mul_hi_u32 v8, s0, v2
	v_mul_lo_u32 v10, s30, v2
	v_mul_lo_u32 v9, s0, v3
	v_add_nc_u32_e32 v8, v8, v9
	v_mul_lo_u32 v9, s0, v2
	v_add_nc_u32_e32 v8, v8, v10
	v_mul_hi_u32 v10, v2, v9
	v_mul_lo_u32 v11, v2, v8
	v_mul_hi_u32 v12, v2, v8
	v_mul_hi_u32 v13, v3, v9
	v_mul_lo_u32 v9, v3, v9
	v_mul_hi_u32 v14, v3, v8
	v_mul_lo_u32 v8, v3, v8
	v_add_co_u32 v10, vcc_lo, v10, v11
	v_add_co_ci_u32_e32 v11, vcc_lo, 0, v12, vcc_lo
	v_add_co_u32 v9, vcc_lo, v10, v9
	v_add_co_ci_u32_e32 v9, vcc_lo, v11, v13, vcc_lo
	v_add_co_ci_u32_e32 v10, vcc_lo, 0, v14, vcc_lo
	v_add_co_u32 v8, vcc_lo, v9, v8
	v_add_co_ci_u32_e32 v9, vcc_lo, 0, v10, vcc_lo
	v_add_co_u32 v8, vcc_lo, v2, v8
	v_add_co_ci_u32_e32 v10, vcc_lo, v3, v9, vcc_lo
	v_mul_hi_u32 v12, v6, v8
	v_mad_u64_u32 v[8:9], null, v7, v8, 0
	v_mad_u64_u32 v[2:3], null, v6, v10, 0
	v_mad_u64_u32 v[10:11], null, v7, v10, 0
	v_add_co_u32 v2, vcc_lo, v12, v2
	v_add_co_ci_u32_e32 v3, vcc_lo, 0, v3, vcc_lo
	v_add_co_u32 v2, vcc_lo, v2, v8
	v_add_co_ci_u32_e32 v2, vcc_lo, v3, v9, vcc_lo
	v_add_co_ci_u32_e32 v3, vcc_lo, 0, v11, vcc_lo
	v_add_co_u32 v8, vcc_lo, v2, v10
	v_add_co_ci_u32_e32 v9, vcc_lo, 0, v3, vcc_lo
	v_mul_lo_u32 v10, s29, v8
	v_mad_u64_u32 v[2:3], null, s28, v8, 0
	v_mul_lo_u32 v11, s28, v9
	v_sub_co_u32 v2, vcc_lo, v6, v2
	v_add3_u32 v3, v3, v11, v10
	v_sub_nc_u32_e32 v10, v7, v3
	v_subrev_co_ci_u32_e64 v10, s0, s29, v10, vcc_lo
	v_add_co_u32 v11, s0, v8, 2
	v_add_co_ci_u32_e64 v12, s0, 0, v9, s0
	v_sub_co_u32 v13, s0, v2, s28
	v_sub_co_ci_u32_e32 v3, vcc_lo, v7, v3, vcc_lo
	v_subrev_co_ci_u32_e64 v10, s0, 0, v10, s0
	v_cmp_le_u32_e32 vcc_lo, s28, v13
	v_cmp_eq_u32_e64 s0, s29, v3
	v_cndmask_b32_e64 v13, 0, -1, vcc_lo
	v_cmp_le_u32_e32 vcc_lo, s29, v10
	v_cndmask_b32_e64 v14, 0, -1, vcc_lo
	v_cmp_le_u32_e32 vcc_lo, s28, v2
	;; [unrolled: 2-line block ×3, first 2 shown]
	v_cndmask_b32_e64 v15, 0, -1, vcc_lo
	v_cmp_eq_u32_e32 vcc_lo, s29, v10
	v_cndmask_b32_e64 v2, v15, v2, s0
	v_cndmask_b32_e32 v10, v14, v13, vcc_lo
	v_add_co_u32 v13, vcc_lo, v8, 1
	v_add_co_ci_u32_e32 v14, vcc_lo, 0, v9, vcc_lo
	v_cmp_ne_u32_e32 vcc_lo, 0, v10
	v_cndmask_b32_e32 v3, v14, v12, vcc_lo
	v_cndmask_b32_e32 v10, v13, v11, vcc_lo
	v_cmp_ne_u32_e32 vcc_lo, 0, v2
	v_cndmask_b32_e32 v115, v9, v3, vcc_lo
	v_cndmask_b32_e32 v114, v8, v10, vcc_lo
.LBB0_4:                                ;   in Loop: Header=BB0_2 Depth=1
	s_andn2_saveexec_b32 s0, s1
	s_cbranch_execz .LBB0_6
; %bb.5:                                ;   in Loop: Header=BB0_2 Depth=1
	v_cvt_f32_u32_e32 v2, s28
	s_sub_i32 s1, 0, s28
	v_mov_b32_e32 v115, v1
	v_rcp_iflag_f32_e32 v2, v2
	v_mul_f32_e32 v2, 0x4f7ffffe, v2
	v_cvt_u32_f32_e32 v2, v2
	v_mul_lo_u32 v3, s1, v2
	v_mul_hi_u32 v3, v2, v3
	v_add_nc_u32_e32 v2, v2, v3
	v_mul_hi_u32 v2, v6, v2
	v_mul_lo_u32 v3, v2, s28
	v_add_nc_u32_e32 v8, 1, v2
	v_sub_nc_u32_e32 v3, v6, v3
	v_subrev_nc_u32_e32 v9, s28, v3
	v_cmp_le_u32_e32 vcc_lo, s28, v3
	v_cndmask_b32_e32 v3, v3, v9, vcc_lo
	v_cndmask_b32_e32 v2, v2, v8, vcc_lo
	v_cmp_le_u32_e32 vcc_lo, s28, v3
	v_add_nc_u32_e32 v8, 1, v2
	v_cndmask_b32_e32 v114, v2, v8, vcc_lo
.LBB0_6:                                ;   in Loop: Header=BB0_2 Depth=1
	s_or_b32 exec_lo, exec_lo, s0
	v_mul_lo_u32 v8, v115, s28
	v_mul_lo_u32 v9, v114, s29
	s_load_dwordx2 s[0:1], s[22:23], 0x0
	v_mad_u64_u32 v[2:3], null, v114, s28, 0
	s_load_dwordx2 s[28:29], s[6:7], 0x0
	s_add_u32 s26, s26, 1
	s_addc_u32 s27, s27, 0
	s_add_u32 s6, s6, 8
	s_addc_u32 s7, s7, 0
	s_add_u32 s22, s22, 8
	v_add3_u32 v3, v3, v9, v8
	v_sub_co_u32 v2, vcc_lo, v6, v2
	s_addc_u32 s23, s23, 0
	s_add_u32 s24, s24, 8
	v_sub_co_ci_u32_e32 v3, vcc_lo, v7, v3, vcc_lo
	s_addc_u32 s25, s25, 0
	s_waitcnt lgkmcnt(0)
	v_mul_lo_u32 v6, s0, v3
	v_mul_lo_u32 v7, s1, v2
	v_mad_u64_u32 v[4:5], null, s0, v2, v[4:5]
	v_mul_lo_u32 v3, s28, v3
	v_mul_lo_u32 v8, s29, v2
	v_mad_u64_u32 v[112:113], null, s28, v2, v[112:113]
	v_cmp_ge_u64_e64 s0, s[26:27], s[14:15]
	v_add3_u32 v5, v7, v5, v6
	v_add3_u32 v113, v8, v113, v3
	s_and_b32 vcc_lo, exec_lo, s0
	s_cbranch_vccnz .LBB0_9
; %bb.7:                                ;   in Loop: Header=BB0_2 Depth=1
	v_mov_b32_e32 v6, v114
	v_mov_b32_e32 v7, v115
	s_branch .LBB0_2
.LBB0_8:
	v_mov_b32_e32 v113, v5
	v_mov_b32_e32 v115, v7
	;; [unrolled: 1-line block ×4, first 2 shown]
.LBB0_9:
	s_load_dwordx2 s[0:1], s[4:5], 0x28
	v_mul_hi_u32 v1, 0x4924925, v0
	s_lshl_b64 s[6:7], s[14:15], 3
                                        ; implicit-def: $vgpr138
                                        ; implicit-def: $vgpr122
                                        ; implicit-def: $vgpr123
                                        ; implicit-def: $vgpr120
                                        ; implicit-def: $vgpr121
                                        ; implicit-def: $vgpr130
                                        ; implicit-def: $vgpr131
                                        ; implicit-def: $vgpr116
                                        ; implicit-def: $vgpr117
                                        ; implicit-def: $vgpr118
	s_add_u32 s4, s18, s6
	s_addc_u32 s5, s19, s7
	s_waitcnt lgkmcnt(0)
	v_cmp_gt_u64_e32 vcc_lo, s[0:1], v[114:115]
	v_cmp_le_u64_e64 s0, s[0:1], v[114:115]
	s_and_saveexec_b32 s1, s0
	s_xor_b32 s0, exec_lo, s1
; %bb.10:
	v_mul_u32_u24_e32 v1, 56, v1
                                        ; implicit-def: $vgpr4_vgpr5
	v_sub_nc_u32_e32 v138, v0, v1
                                        ; implicit-def: $vgpr1
                                        ; implicit-def: $vgpr0
	v_add_nc_u32_e32 v122, 56, v138
	v_add_nc_u32_e32 v123, 0x70, v138
	;; [unrolled: 1-line block ×7, first 2 shown]
	v_or_b32_e32 v117, 0x1c0, v138
	v_add_nc_u32_e32 v118, 0x1f8, v138
; %bb.11:
	s_or_saveexec_b32 s1, s0
	s_load_dwordx2 s[4:5], s[4:5], 0x0
                                        ; implicit-def: $vgpr82_vgpr83
                                        ; implicit-def: $vgpr62_vgpr63
                                        ; implicit-def: $vgpr42_vgpr43
                                        ; implicit-def: $vgpr6_vgpr7
                                        ; implicit-def: $vgpr46_vgpr47
                                        ; implicit-def: $vgpr10_vgpr11
                                        ; implicit-def: $vgpr50_vgpr51
                                        ; implicit-def: $vgpr14_vgpr15
                                        ; implicit-def: $vgpr54_vgpr55
                                        ; implicit-def: $vgpr18_vgpr19
                                        ; implicit-def: $vgpr66_vgpr67
                                        ; implicit-def: $vgpr22_vgpr23
                                        ; implicit-def: $vgpr70_vgpr71
                                        ; implicit-def: $vgpr26_vgpr27
                                        ; implicit-def: $vgpr78_vgpr79
                                        ; implicit-def: $vgpr30_vgpr31
                                        ; implicit-def: $vgpr86_vgpr87
                                        ; implicit-def: $vgpr34_vgpr35
                                        ; implicit-def: $vgpr90_vgpr91
                                        ; implicit-def: $vgpr38_vgpr39
                                        ; implicit-def: $vgpr74_vgpr75
                                        ; implicit-def: $vgpr2_vgpr3
	s_xor_b32 exec_lo, exec_lo, s1
	s_cbranch_execz .LBB0_15
; %bb.12:
	s_add_u32 s6, s16, s6
	s_addc_u32 s7, s17, s7
	v_mul_u32_u24_e32 v1, 56, v1
	s_load_dwordx2 s[6:7], s[6:7], 0x0
	v_lshlrev_b64 v[2:3], 4, v[4:5]
	v_sub_nc_u32_e32 v138, v0, v1
	v_add_nc_u32_e32 v13, 0x24c, v138
	v_mad_u64_u32 v[0:1], null, s20, v138, 0
	v_add_nc_u32_e32 v122, 56, v138
	v_add_nc_u32_e32 v16, 0x284, v138
	v_mad_u64_u32 v[4:5], null, s20, v13, 0
	v_add_nc_u32_e32 v123, 0x70, v138
	v_mad_u64_u32 v[6:7], null, s20, v122, 0
	v_mad_u64_u32 v[10:11], null, s21, v138, v[1:2]
	s_waitcnt lgkmcnt(0)
	v_mul_lo_u32 v14, s7, v114
	v_mul_lo_u32 v15, s6, v115
	v_mad_u64_u32 v[8:9], null, s6, v114, 0
	v_mov_b32_e32 v1, v5
	v_mad_u64_u32 v[11:12], null, s20, v16, 0
	v_mov_b32_e32 v5, v7
	v_add_nc_u32_e32 v120, 0xa8, v138
	v_add_nc_u32_e32 v20, 0x2f4, v138
	v_add3_u32 v9, v9, v15, v14
	v_mad_u64_u32 v[13:14], null, s21, v13, v[1:2]
	v_mov_b32_e32 v1, v10
	v_mad_u64_u32 v[14:15], null, s20, v123, 0
	v_lshlrev_b64 v[7:8], 4, v[8:9]
	v_mad_u64_u32 v[9:10], null, s21, v122, v[5:6]
	v_mov_b32_e32 v10, v12
	v_mov_b32_e32 v5, v13
	v_lshlrev_b64 v[0:1], 4, v[0:1]
	v_add_co_u32 v12, s0, s8, v7
	v_add_co_ci_u32_e64 v8, s0, s9, v8, s0
	v_mov_b32_e32 v7, v9
	v_add_co_u32 v56, s0, v12, v2
	v_add_co_ci_u32_e64 v57, s0, v8, v3, s0
	v_lshlrev_b64 v[2:3], 4, v[4:5]
	v_add_co_u32 v0, s0, v56, v0
	v_add_nc_u32_e32 v13, 0x2bc, v138
	v_add_co_ci_u32_e64 v1, s0, v57, v1, s0
	v_add_co_u32 v8, s0, v56, v2
	v_mad_u64_u32 v[4:5], null, s21, v16, v[10:11]
	v_add_co_ci_u32_e64 v9, s0, v57, v3, s0
	v_lshlrev_b64 v[2:3], 4, v[6:7]
	v_mad_u64_u32 v[6:7], null, s20, v13, 0
	v_mov_b32_e32 v5, v15
	v_mov_b32_e32 v12, v4
	v_add_nc_u32_e32 v121, 0xe0, v138
	v_add_co_u32 v16, s0, v56, v2
	v_add_co_ci_u32_e64 v17, s0, v57, v3, s0
	v_mad_u64_u32 v[4:5], null, s21, v123, v[5:6]
	v_mov_b32_e32 v5, v7
	v_lshlrev_b64 v[2:3], 4, v[11:12]
	v_mad_u64_u32 v[10:11], null, s20, v120, 0
	v_add_nc_u32_e32 v24, 0x32c, v138
	v_add_nc_u32_e32 v130, 0x118, v138
	v_mov_b32_e32 v15, v4
	v_mad_u64_u32 v[4:5], null, s21, v13, v[5:6]
	v_add_co_u32 v12, s0, v56, v2
	v_add_co_ci_u32_e64 v13, s0, v57, v3, s0
	v_lshlrev_b64 v[2:3], 4, v[14:15]
	v_mov_b32_e32 v5, v11
	v_mov_b32_e32 v7, v4
	v_mad_u64_u32 v[14:15], null, s20, v20, 0
	v_add_nc_u32_e32 v28, 0x364, v138
	v_add_co_u32 v18, s0, v56, v2
	v_mad_u64_u32 v[4:5], null, s21, v120, v[5:6]
	v_add_co_ci_u32_e64 v19, s0, v57, v3, s0
	v_lshlrev_b64 v[2:3], 4, v[6:7]
	v_mad_u64_u32 v[6:7], null, s20, v121, 0
	v_mov_b32_e32 v5, v15
	v_mov_b32_e32 v11, v4
	v_add_nc_u32_e32 v131, 0x150, v138
	v_add_nc_u32_e32 v116, 0x188, v138
	v_or_b32_e32 v117, 0x1c0, v138
	v_add_nc_u32_e32 v35, 0x40c, v138
	v_mad_u64_u32 v[4:5], null, s21, v20, v[5:6]
	v_add_co_u32 v20, s0, v56, v2
	v_mov_b32_e32 v5, v7
	v_add_co_ci_u32_e64 v21, s0, v57, v3, s0
	v_lshlrev_b64 v[2:3], 4, v[10:11]
	v_mad_u64_u32 v[10:11], null, s20, v24, 0
	v_mov_b32_e32 v15, v4
	v_mad_u64_u32 v[4:5], null, s21, v121, v[5:6]
	v_add_co_u32 v22, s0, v56, v2
	v_add_co_ci_u32_e64 v23, s0, v57, v3, s0
	v_lshlrev_b64 v[2:3], 4, v[14:15]
	v_mov_b32_e32 v5, v11
	v_mov_b32_e32 v7, v4
	v_mad_u64_u32 v[14:15], null, s20, v130, 0
	v_add_nc_u32_e32 v118, 0x1f8, v138
	v_mad_u64_u32 v[4:5], null, s21, v24, v[5:6]
	v_add_co_u32 v24, s0, v56, v2
	v_add_co_ci_u32_e64 v25, s0, v57, v3, s0
	v_lshlrev_b64 v[2:3], 4, v[6:7]
	v_mad_u64_u32 v[6:7], null, s20, v28, 0
	v_mov_b32_e32 v5, v15
	v_mov_b32_e32 v11, v4
	v_add_nc_u32_e32 v37, 0x444, v138
	v_add_co_u32 v26, s0, v56, v2
	v_add_co_ci_u32_e64 v27, s0, v57, v3, s0
	v_mad_u64_u32 v[4:5], null, s21, v130, v[5:6]
	v_mov_b32_e32 v5, v7
	v_lshlrev_b64 v[2:3], 4, v[10:11]
	v_mad_u64_u32 v[10:11], null, s20, v131, 0
	v_mad_u64_u32 v[33:34], null, s20, v37, 0
	v_mov_b32_e32 v15, v4
	v_mad_u64_u32 v[4:5], null, s21, v28, v[5:6]
	v_add_co_u32 v40, s0, v56, v2
	v_add_nc_u32_e32 v28, 0x39c, v138
	v_add_co_ci_u32_e64 v41, s0, v57, v3, s0
	v_lshlrev_b64 v[2:3], 4, v[14:15]
	v_mov_b32_e32 v5, v11
	v_mov_b32_e32 v7, v4
	v_mad_u64_u32 v[14:15], null, s20, v28, 0
	s_mov_b32 s6, exec_lo
	v_add_co_u32 v42, s0, v56, v2
	v_mad_u64_u32 v[4:5], null, s21, v131, v[5:6]
	v_add_co_ci_u32_e64 v43, s0, v57, v3, s0
	v_lshlrev_b64 v[2:3], 4, v[6:7]
	v_mad_u64_u32 v[6:7], null, s20, v116, 0
	v_mov_b32_e32 v5, v15
	v_mov_b32_e32 v11, v4
	v_add_co_u32 v44, s0, v56, v2
	v_add_co_ci_u32_e64 v45, s0, v57, v3, s0
	v_mad_u64_u32 v[4:5], null, s21, v28, v[5:6]
	v_add_nc_u32_e32 v28, 0x3d4, v138
	v_lshlrev_b64 v[2:3], 4, v[10:11]
	v_mov_b32_e32 v5, v7
	v_mad_u64_u32 v[10:11], null, s20, v28, 0
	v_mov_b32_e32 v15, v4
	v_mad_u64_u32 v[4:5], null, s21, v116, v[5:6]
	v_add_co_u32 v46, s0, v56, v2
	v_add_co_ci_u32_e64 v47, s0, v57, v3, s0
	v_mov_b32_e32 v2, v11
	v_lshlrev_b64 v[14:15], 4, v[14:15]
	v_mov_b32_e32 v7, v4
	v_mad_u64_u32 v[2:3], null, s21, v28, v[2:3]
	v_mad_u64_u32 v[3:4], null, s20, v117, 0
	v_mad_u64_u32 v[28:29], null, s20, v35, 0
	v_lshlrev_b64 v[5:6], 4, v[6:7]
	v_add_co_u32 v14, s0, v56, v14
	v_mov_b32_e32 v11, v2
	v_mov_b32_e32 v2, v4
	v_add_co_ci_u32_e64 v15, s0, v57, v15, s0
	v_add_co_u32 v5, s0, v56, v5
	v_mad_u64_u32 v[30:31], null, s21, v117, v[2:3]
	v_mad_u64_u32 v[31:32], null, s20, v118, 0
	v_mov_b32_e32 v2, v29
	v_lshlrev_b64 v[10:11], 4, v[10:11]
	v_add_co_ci_u32_e64 v6, s0, v57, v6, s0
	v_mov_b32_e32 v4, v30
	v_mad_u64_u32 v[29:30], null, s21, v35, v[2:3]
	v_mov_b32_e32 v7, v32
	v_mov_b32_e32 v2, v34
	v_lshlrev_b64 v[3:4], 4, v[3:4]
	v_add_co_u32 v10, s0, v56, v10
	v_mad_u64_u32 v[35:36], null, s21, v118, v[7:8]
	v_lshlrev_b64 v[28:29], 4, v[28:29]
	v_add_co_ci_u32_e64 v11, s0, v57, v11, s0
	v_add_co_u32 v58, s0, v56, v3
	v_add_co_ci_u32_e64 v59, s0, v57, v4, s0
	v_mov_b32_e32 v32, v35
	v_mad_u64_u32 v[34:35], null, s21, v37, v[2:3]
	s_clause 0x1
	global_load_dwordx4 v[0:3], v[0:1], off
	global_load_dwordx4 v[72:75], v[8:9], off
	v_add_co_u32 v60, s0, v56, v28
	v_lshlrev_b64 v[7:8], 4, v[31:32]
	v_add_co_ci_u32_e64 v61, s0, v57, v29, s0
	v_lshlrev_b64 v[28:29], 4, v[33:34]
	v_add_co_u32 v62, s0, v56, v7
	v_add_co_ci_u32_e64 v63, s0, v57, v8, s0
	v_add_co_u32 v80, s0, v56, v28
	v_add_co_ci_u32_e64 v81, s0, v57, v29, s0
	s_clause 0x11
	global_load_dwordx4 v[36:39], v[16:17], off
	global_load_dwordx4 v[88:91], v[12:13], off
	;; [unrolled: 1-line block ×18, first 2 shown]
                                        ; implicit-def: $vgpr60_vgpr61
                                        ; implicit-def: $vgpr80_vgpr81
	v_cmpx_gt_u32_e32 28, v138
	s_cbranch_execz .LBB0_14
; %bb.13:
	v_add_nc_u32_e32 v62, 0x230, v138
	v_add_nc_u32_e32 v80, 0x47c, v138
	v_mad_u64_u32 v[58:59], null, s20, v62, 0
	v_mad_u64_u32 v[60:61], null, s20, v80, 0
	v_mad_u64_u32 v[62:63], null, s21, v62, v[59:60]
	v_mad_u64_u32 v[80:81], null, s21, v80, v[61:62]
	v_mov_b32_e32 v59, v62
	v_lshlrev_b64 v[58:59], 4, v[58:59]
	v_mov_b32_e32 v61, v80
	v_add_co_u32 v58, s0, v56, v58
	v_lshlrev_b64 v[60:61], 4, v[60:61]
	v_add_co_ci_u32_e64 v59, s0, v57, v59, s0
	v_add_co_u32 v56, s0, v56, v60
	v_add_co_ci_u32_e64 v57, s0, v57, v61, s0
	s_clause 0x1
	global_load_dwordx4 v[60:63], v[58:59], off
	global_load_dwordx4 v[80:83], v[56:57], off
.LBB0_14:
	s_or_b32 exec_lo, exec_lo, s6
.LBB0_15:
	s_or_b32 exec_lo, exec_lo, s1
	s_waitcnt vmcnt(18)
	v_add_f64 v[94:95], v[0:1], -v[72:73]
	s_waitcnt vmcnt(0)
	v_add_f64 v[58:59], v[60:61], -v[80:81]
	v_add_f64 v[98:99], v[36:37], -v[88:89]
	;; [unrolled: 1-line block ×10, first 2 shown]
	v_add_nc_u32_e32 v84, 0x230, v138
	v_lshl_add_u32 v72, v138, 4, 0
	v_lshl_add_u32 v49, v122, 4, 0
	;; [unrolled: 1-line block ×7, first 2 shown]
	v_cmp_gt_u32_e64 s0, 28, v138
	v_fma_f64 v[92:93], v[0:1], 2.0, -v[94:95]
	v_fma_f64 v[56:57], v[60:61], 2.0, -v[58:59]
	v_fma_f64 v[96:97], v[36:37], 2.0, -v[98:99]
	v_fma_f64 v[100:101], v[32:33], 2.0, -v[102:103]
	v_fma_f64 v[104:105], v[28:29], 2.0, -v[106:107]
	v_fma_f64 v[108:109], v[24:25], 2.0, -v[110:111]
	v_fma_f64 v[124:125], v[20:21], 2.0, -v[126:127]
	v_fma_f64 v[132:133], v[16:17], 2.0, -v[134:135]
	v_fma_f64 v[139:140], v[12:13], 2.0, -v[141:142]
	v_fma_f64 v[143:144], v[8:9], 2.0, -v[145:146]
	v_fma_f64 v[147:148], v[4:5], 2.0, -v[149:150]
	v_lshl_add_u32 v28, v123, 4, 0
	v_lshl_add_u32 v37, v120, 4, 0
	;; [unrolled: 1-line block ×4, first 2 shown]
	ds_write_b128 v72, v[92:95]
	ds_write_b128 v49, v[96:99]
	;; [unrolled: 1-line block ×10, first 2 shown]
	s_and_saveexec_b32 s1, s0
	s_cbranch_execz .LBB0_17
; %bb.16:
	ds_write_b128 v29, v[56:59]
.LBB0_17:
	s_or_b32 exec_lo, exec_lo, s1
	v_lshl_add_u32 v125, v138, 3, 0
	v_lshlrev_b32_e32 v32, 3, v123
	v_lshlrev_b32_e32 v33, 3, v120
	;; [unrolled: 1-line block ×3, first 2 shown]
	v_lshl_add_u32 v124, v122, 3, 0
	v_add_nc_u32_e32 v0, 0x1000, v125
	v_lshlrev_b32_e32 v76, 3, v130
	v_sub_nc_u32_e32 v4, v28, v32
	v_lshlrev_b32_e32 v77, 3, v131
	v_sub_nc_u32_e32 v5, v37, v33
	v_lshlrev_b32_e32 v80, 3, v116
	v_lshlrev_b32_e32 v81, 3, v117
	;; [unrolled: 1-line block ×3, first 2 shown]
	s_waitcnt lgkmcnt(0)
	s_barrier
	buffer_gl0_inv
	ds_read2_b64 v[96:99], v0 offset0:76 offset1:132
	ds_read2_b64 v[92:95], v0 offset0:188 offset1:244
	v_add_nc_u32_e32 v20, 0x1800, v125
	ds_read_b64 v[0:1], v125
	ds_read_b64 v[8:9], v124
	ds_read_b64 v[12:13], v4
	ds_read_b64 v[16:17], v5
	v_sub_nc_u32_e32 v4, v36, v73
	v_sub_nc_u32_e32 v5, v41, v76
	;; [unrolled: 1-line block ×5, first 2 shown]
	v_add_nc_u32_e32 v65, 0x2000, v125
	v_sub_nc_u32_e32 v68, v44, v85
	ds_read2_b64 v[100:103], v20 offset0:44 offset1:100
	ds_read2_b64 v[104:107], v20 offset0:156 offset1:212
	ds_read_b64 v[20:21], v4
	ds_read_b64 v[24:25], v5
	;; [unrolled: 1-line block ×4, first 2 shown]
	ds_read2_b64 v[108:111], v65 offset0:12 offset1:68
	ds_read_b64 v[64:65], v64
	ds_read_b64 v[68:69], v68
	s_and_saveexec_b32 s1, s0
	s_cbranch_execz .LBB0_19
; %bb.18:
	ds_read_b64 v[56:57], v125 offset:4480
	ds_read_b64 v[58:59], v125 offset:9184
.LBB0_19:
	s_or_b32 exec_lo, exec_lo, s1
	v_add_f64 v[88:89], v[2:3], -v[74:75]
	v_add_f64 v[4:5], v[62:63], -v[82:83]
	;; [unrolled: 1-line block ×11, first 2 shown]
	s_waitcnt lgkmcnt(0)
	s_barrier
	buffer_gl0_inv
	v_fma_f64 v[86:87], v[2:3], 2.0, -v[88:89]
	v_fma_f64 v[2:3], v[62:63], 2.0, -v[4:5]
	;; [unrolled: 1-line block ×11, first 2 shown]
	v_sub_nc_u32_e32 v19, 0, v32
	v_sub_nc_u32_e32 v18, 0, v33
	;; [unrolled: 1-line block ×8, first 2 shown]
	ds_write_b128 v72, v[86:89]
	ds_write_b128 v49, v[126:129]
	;; [unrolled: 1-line block ×10, first 2 shown]
	s_and_saveexec_b32 s1, s0
	s_cbranch_execz .LBB0_21
; %bb.20:
	ds_write_b128 v29, v[2:5]
.LBB0_21:
	s_or_b32 exec_lo, exec_lo, s1
	v_add_nc_u32_e32 v22, 0x1000, v125
	v_add_nc_u32_e32 v127, v37, v18
	;; [unrolled: 1-line block ×10, first 2 shown]
	s_waitcnt lgkmcnt(0)
	s_barrier
	buffer_gl0_inv
	ds_read2_b64 v[26:29], v22 offset0:76 offset1:132
	ds_read2_b64 v[30:33], v22 offset0:188 offset1:244
	ds_read_b64 v[54:55], v125
	ds_read_b64 v[62:63], v124
	;; [unrolled: 1-line block ×4, first 2 shown]
	ds_read2_b64 v[34:37], v18 offset0:44 offset1:100
	ds_read2_b64 v[38:41], v18 offset0:156 offset1:212
	v_add_nc_u32_e32 v129, v44, v6
	ds_read_b64 v[72:73], v132
	ds_read_b64 v[74:75], v133
	;; [unrolled: 1-line block ×4, first 2 shown]
	ds_read2_b64 v[42:45], v7 offset0:12 offset1:68
	ds_read_b64 v[80:81], v147
	ds_read_b64 v[82:83], v129
	v_lshlrev_b32_e32 v146, 1, v138
	v_lshlrev_b32_e32 v145, 1, v122
	;; [unrolled: 1-line block ×10, first 2 shown]
	s_and_saveexec_b32 s1, s0
	s_cbranch_execz .LBB0_23
; %bb.22:
	ds_read_b64 v[2:3], v125 offset:4480
	ds_read_b64 v[4:5], v125 offset:9184
.LBB0_23:
	s_or_b32 exec_lo, exec_lo, s1
	v_and_b32_e32 v148, 1, v138
	v_lshlrev_b32_e32 v135, 1, v84
	v_lshlrev_b32_e32 v6, 4, v148
	v_and_or_b32 v149, 0x7c, v146, v148
	v_and_or_b32 v150, 0xfc, v145, v148
	;; [unrolled: 1-line block ×4, first 2 shown]
	global_load_dwordx4 v[46:49], v6, s[12:13]
	v_and_or_b32 v153, 0x3fc, v142, v148
	v_and_or_b32 v154, 0x2fc, v141, v148
	;; [unrolled: 1-line block ×6, first 2 shown]
	s_waitcnt vmcnt(0) lgkmcnt(0)
	s_barrier
	buffer_gl0_inv
	v_mul_f64 v[6:7], v[26:27], v[48:49]
	v_mul_f64 v[50:51], v[36:37], v[48:49]
	;; [unrolled: 1-line block ×11, first 2 shown]
	v_fma_f64 v[6:7], v[96:97], v[46:47], -v[6:7]
	v_fma_f64 v[50:51], v[102:103], v[46:47], -v[50:51]
	v_fma_f64 v[85:86], v[104:105], v[46:47], -v[85:86]
	v_fma_f64 v[118:119], v[58:59], v[46:47], -v[118:119]
	v_fma_f64 v[10:11], v[98:99], v[46:47], -v[10:11]
	v_fma_f64 v[14:15], v[92:93], v[46:47], -v[14:15]
	v_fma_f64 v[18:19], v[94:95], v[46:47], -v[18:19]
	v_fma_f64 v[22:23], v[100:101], v[46:47], -v[22:23]
	v_fma_f64 v[87:88], v[106:107], v[46:47], -v[87:88]
	v_fma_f64 v[89:90], v[108:109], v[46:47], -v[89:90]
	v_fma_f64 v[116:117], v[110:111], v[46:47], -v[116:117]
	v_add_f64 v[6:7], v[0:1], -v[6:7]
	v_add_f64 v[157:158], v[24:25], -v[50:51]
	;; [unrolled: 1-line block ×11, first 2 shown]
	v_fma_f64 v[116:117], v[0:1], 2.0, -v[6:7]
	v_fma_f64 v[24:25], v[24:25], 2.0, -v[157:158]
	;; [unrolled: 1-line block ×11, first 2 shown]
	v_lshl_add_u32 v0, v149, 3, 0
	v_lshl_add_u32 v1, v150, 3, 0
	;; [unrolled: 1-line block ×10, first 2 shown]
	ds_write2_b64 v0, v[116:117], v[6:7] offset1:2
	ds_write2_b64 v1, v[8:9], v[10:11] offset1:2
	ds_write2_b64 v149, v[12:13], v[14:15] offset1:2
	ds_write2_b64 v150, v[16:17], v[18:19] offset1:2
	ds_write2_b64 v151, v[20:21], v[22:23] offset1:2
	ds_write2_b64 v152, v[24:25], v[157:158] offset1:2
	ds_write2_b64 v153, v[118:119], v[84:85] offset1:2
	ds_write2_b64 v154, v[60:61], v[86:87] offset1:2
	ds_write2_b64 v155, v[64:65], v[88:89] offset1:2
	ds_write2_b64 v156, v[68:69], v[90:91] offset1:2
	s_and_saveexec_b32 s1, s0
	s_cbranch_execz .LBB0_25
; %bb.24:
	v_and_or_b32 v6, 0x4fc, v135, v148
	v_lshl_add_u32 v6, v6, 3, 0
	ds_write2_b64 v6, v[52:53], v[50:51] offset1:2
.LBB0_25:
	s_or_b32 exec_lo, exec_lo, s1
	v_add_nc_u32_e32 v6, 0x1000, v125
	v_add_nc_u32_e32 v14, 0x1800, v125
	v_add_nc_u32_e32 v22, 0x2000, v125
	s_waitcnt lgkmcnt(0)
	s_barrier
	buffer_gl0_inv
	ds_read2_b64 v[10:13], v6 offset0:76 offset1:132
	ds_read2_b64 v[6:9], v6 offset0:188 offset1:244
	ds_read_b64 v[56:57], v125
	ds_read_b64 v[60:61], v124
	;; [unrolled: 1-line block ×4, first 2 shown]
	ds_read2_b64 v[18:21], v14 offset0:44 offset1:100
	ds_read2_b64 v[14:17], v14 offset0:156 offset1:212
	ds_read_b64 v[84:85], v132
	ds_read_b64 v[86:87], v133
	;; [unrolled: 1-line block ×4, first 2 shown]
	ds_read2_b64 v[22:25], v22 offset0:12 offset1:68
	ds_read_b64 v[116:117], v147
	ds_read_b64 v[118:119], v129
	s_and_saveexec_b32 s1, s0
	s_cbranch_execz .LBB0_27
; %bb.26:
	ds_read_b64 v[52:53], v125 offset:4480
	ds_read_b64 v[50:51], v125 offset:9184
.LBB0_27:
	s_or_b32 exec_lo, exec_lo, s1
	v_mul_f64 v[96:97], v[96:97], v[48:49]
	v_mul_f64 v[98:99], v[98:99], v[48:49]
	;; [unrolled: 1-line block ×11, first 2 shown]
	s_waitcnt lgkmcnt(0)
	s_barrier
	buffer_gl0_inv
	v_fma_f64 v[26:27], v[26:27], v[46:47], v[96:97]
	v_fma_f64 v[28:29], v[28:29], v[46:47], v[98:99]
	;; [unrolled: 1-line block ×11, first 2 shown]
	v_add_f64 v[26:27], v[54:55], -v[26:27]
	v_add_f64 v[28:29], v[62:63], -v[28:29]
	;; [unrolled: 1-line block ×11, first 2 shown]
	v_fma_f64 v[4:5], v[54:55], 2.0, -v[26:27]
	v_fma_f64 v[46:47], v[62:63], 2.0, -v[28:29]
	;; [unrolled: 1-line block ×11, first 2 shown]
	ds_write2_b64 v0, v[4:5], v[26:27] offset1:2
	ds_write2_b64 v1, v[46:47], v[28:29] offset1:2
	;; [unrolled: 1-line block ×10, first 2 shown]
	s_and_saveexec_b32 s1, s0
	s_cbranch_execz .LBB0_29
; %bb.28:
	v_and_or_b32 v0, 0x4fc, v135, v148
	v_lshl_add_u32 v0, v0, 3, 0
	ds_write2_b64 v0, v[54:55], v[48:49] offset1:2
.LBB0_29:
	s_or_b32 exec_lo, exec_lo, s1
	v_add_nc_u32_e32 v4, 0x1000, v125
	s_waitcnt lgkmcnt(0)
	s_barrier
	buffer_gl0_inv
	ds_read2_b64 v[0:3], v4 offset0:76 offset1:132
	ds_read2_b64 v[26:29], v4 offset0:188 offset1:244
	v_add_nc_u32_e32 v4, 0x1800, v125
	ds_read_b64 v[58:59], v125
	ds_read_b64 v[62:63], v124
	;; [unrolled: 1-line block ×4, first 2 shown]
	ds_read2_b64 v[36:39], v4 offset0:44 offset1:100
	ds_read2_b64 v[40:43], v4 offset0:156 offset1:212
	v_add_nc_u32_e32 v4, 0x2000, v125
	ds_read_b64 v[80:81], v132
	ds_read_b64 v[82:83], v133
	;; [unrolled: 1-line block ×4, first 2 shown]
	ds_read2_b64 v[44:47], v4 offset0:12 offset1:68
	ds_read_b64 v[96:97], v147
	ds_read_b64 v[98:99], v129
	s_and_saveexec_b32 s1, s0
	s_cbranch_execz .LBB0_31
; %bb.30:
	ds_read_b64 v[54:55], v125 offset:4480
	ds_read_b64 v[48:49], v125 offset:9184
.LBB0_31:
	s_or_b32 exec_lo, exec_lo, s1
	v_and_b32_e32 v100, 3, v138
	v_lshlrev_b32_e32 v4, 4, v100
	v_and_or_b32 v152, 0x3f8, v137, v100
	v_and_or_b32 v153, 0x7f8, v136, v100
	;; [unrolled: 1-line block ×4, first 2 shown]
	global_load_dwordx4 v[32:35], v4, s[12:13] offset:32
	v_and_or_b32 v148, 0x3f8, v142, v100
	v_and_or_b32 v149, 0x2f8, v141, v100
	;; [unrolled: 1-line block ×6, first 2 shown]
	s_waitcnt vmcnt(0) lgkmcnt(0)
	s_barrier
	buffer_gl0_inv
	v_mul_f64 v[4:5], v[0:1], v[34:35]
	v_mul_f64 v[30:31], v[2:3], v[34:35]
	;; [unrolled: 1-line block ×10, first 2 shown]
	v_fma_f64 v[4:5], v[10:11], v[32:33], -v[4:5]
	v_fma_f64 v[30:31], v[12:13], v[32:33], -v[30:31]
	;; [unrolled: 1-line block ×10, first 2 shown]
	v_add_f64 v[4:5], v[56:57], -v[4:5]
	v_add_f64 v[30:31], v[60:61], -v[30:31]
	;; [unrolled: 1-line block ×10, first 2 shown]
	v_fma_f64 v[109:110], v[56:57], 2.0, -v[4:5]
	v_fma_f64 v[136:137], v[60:61], 2.0, -v[30:31]
	;; [unrolled: 1-line block ×10, first 2 shown]
	v_lshl_add_u32 v56, v111, 3, 0
	v_lshl_add_u32 v57, v145, 3, 0
	;; [unrolled: 1-line block ×10, first 2 shown]
	ds_write2_b64 v56, v[109:110], v[4:5] offset1:4
	ds_write2_b64 v57, v[136:137], v[30:31] offset1:4
	;; [unrolled: 1-line block ×10, first 2 shown]
	s_and_saveexec_b32 s1, s0
	s_cbranch_execz .LBB0_33
; %bb.32:
	v_mul_f64 v[4:5], v[48:49], v[34:35]
	v_fma_f64 v[4:5], v[50:51], v[32:33], -v[4:5]
	v_add_f64 v[4:5], v[52:53], -v[4:5]
	v_fma_f64 v[30:31], v[52:53], 2.0, -v[4:5]
	v_and_or_b32 v52, 0x4f8, v135, v100
	v_lshl_add_u32 v52, v52, 3, 0
	ds_write2_b64 v52, v[30:31], v[4:5] offset1:4
.LBB0_33:
	s_or_b32 exec_lo, exec_lo, s1
	v_mul_f64 v[4:5], v[10:11], v[34:35]
	v_mul_f64 v[10:11], v[12:13], v[34:35]
	;; [unrolled: 1-line block ×10, first 2 shown]
	v_add_nc_u32_e32 v110, 0x1400, v125
	v_add_nc_u32_e32 v108, 0x1800, v125
	;; [unrolled: 1-line block ×5, first 2 shown]
	s_waitcnt lgkmcnt(0)
	s_barrier
	buffer_gl0_inv
	v_fma_f64 v[4:5], v[0:1], v[32:33], v[4:5]
	v_fma_f64 v[10:11], v[2:3], v[32:33], v[10:11]
	;; [unrolled: 1-line block ×10, first 2 shown]
	ds_read2st64_b64 v[0:3], v125 offset1:7
	ds_read_b64 v[74:75], v124
	ds_read_b64 v[72:73], v126
	;; [unrolled: 1-line block ×5, first 2 shown]
	v_add_f64 v[24:25], v[58:59], -v[4:5]
	v_add_f64 v[26:27], v[62:63], -v[10:11]
	;; [unrolled: 1-line block ×10, first 2 shown]
	ds_read_b64 v[84:85], v134
	ds_read_b64 v[68:69], v128
	ds_read2_b64 v[4:7], v110 offset0:88 offset1:144
	ds_read2_b64 v[28:31], v108 offset0:72 offset1:128
	;; [unrolled: 1-line block ×6, first 2 shown]
	s_waitcnt lgkmcnt(0)
	s_barrier
	buffer_gl0_inv
	v_fma_f64 v[58:59], v[58:59], 2.0, -v[24:25]
	v_fma_f64 v[62:63], v[62:63], 2.0, -v[26:27]
	;; [unrolled: 1-line block ×10, first 2 shown]
	ds_write2_b64 v56, v[58:59], v[24:25] offset1:4
	ds_write2_b64 v57, v[62:63], v[26:27] offset1:4
	;; [unrolled: 1-line block ×10, first 2 shown]
	s_and_saveexec_b32 s1, s0
	s_cbranch_execz .LBB0_35
; %bb.34:
	v_mul_f64 v[24:25], v[50:51], v[34:35]
	v_fma_f64 v[24:25], v[48:49], v[32:33], v[24:25]
	v_and_or_b32 v32, 0x4f8, v135, v100
	v_lshl_add_u32 v32, v32, 3, 0
	v_add_f64 v[24:25], v[54:55], -v[24:25]
	v_fma_f64 v[26:27], v[54:55], 2.0, -v[24:25]
	ds_write2_b64 v32, v[26:27], v[24:25] offset1:4
.LBB0_35:
	s_or_b32 exec_lo, exec_lo, s1
	v_and_b32_e32 v92, 7, v138
	s_waitcnt lgkmcnt(0)
	s_barrier
	buffer_gl0_inv
	v_and_b32_e32 v100, 0xff, v138
	v_lshlrev_b32_e32 v24, 5, v92
	v_and_b32_e32 v101, 0xff, v122
	v_lshrrev_b32_e32 v94, 3, v122
	v_lshrrev_b32_e32 v95, 3, v123
	;; [unrolled: 1-line block ×3, first 2 shown]
	s_clause 0x1
	global_load_dwordx4 v[32:35], v24, s[12:13] offset:112
	global_load_dwordx4 v[36:39], v24, s[12:13] offset:96
	ds_read2st64_b64 v[24:27], v125 offset1:7
	ds_read2_b64 v[40:43], v110 offset0:88 offset1:144
	ds_read2_b64 v[60:63], v108 offset0:72 offset1:128
	;; [unrolled: 1-line block ×4, first 2 shown]
	ds_read_b64 v[88:89], v124
	ds_read_b64 v[86:87], v126
	;; [unrolled: 1-line block ×4, first 2 shown]
	ds_read2_b64 v[52:55], v109 offset0:104 offset1:160
	ds_read_b64 v[78:79], v133
	ds_read2_b64 v[44:47], v118 offset0:40 offset1:96
	ds_read_b64 v[90:91], v134
	ds_read_b64 v[76:77], v128
	v_lshrrev_b32_e32 v97, 3, v121
	v_lshrrev_b32_e32 v98, 3, v130
	v_lshrrev_b32_e32 v93, 3, v138
	v_mul_lo_u16 v100, 0xab, v100
	v_mul_lo_u16 v101, 0xab, v101
	v_lshrrev_b32_e32 v99, 3, v131
	v_mul_lo_u32 v94, v94, 24
	v_mul_lo_u32 v95, v95, 24
	;; [unrolled: 1-line block ×5, first 2 shown]
	v_mul_u32_u24_e32 v93, 24, v93
	v_lshrrev_b16 v116, 12, v100
	v_lshrrev_b16 v117, 12, v101
	v_mul_lo_u32 v99, v99, 24
	v_and_b32_e32 v103, 0xff, v123
	v_or_b32_e32 v93, v93, v92
	v_or_b32_e32 v94, v94, v92
	;; [unrolled: 1-line block ×6, first 2 shown]
	v_mul_lo_u16 v100, v116, 24
	v_mul_lo_u16 v101, v117, 24
	;; [unrolled: 1-line block ×3, first 2 shown]
	v_or_b32_e32 v121, v99, v92
	v_lshl_add_u32 v137, v93, 3, 0
	v_lshl_add_u32 v155, v94, 3, 0
	;; [unrolled: 1-line block ×6, first 2 shown]
	v_sub_nc_u16 v119, v138, v100
	v_sub_nc_u16 v120, v122, v101
	v_mov_b32_e32 v102, 6
	s_mov_b32 s0, 0xe8584caa
	s_mov_b32 s1, 0x3febb67a
	;; [unrolled: 1-line block ×4, first 2 shown]
	v_mul_u32_u24_sdwa v160, v120, v102 dst_sel:DWORD dst_unused:UNUSED_PAD src0_sel:BYTE_0 src1_sel:DWORD
	v_add_nc_u32_e32 v130, 0x800, v125
	s_waitcnt vmcnt(0) lgkmcnt(0)
	s_barrier
	buffer_gl0_inv
	v_lshl_add_u32 v121, v121, 3, 0
	s_mov_b32 s24, 0x36b3c0b5
	s_mov_b32 s26, 0xe976ee23
	;; [unrolled: 1-line block ×16, first 2 shown]
	v_mul_f64 v[92:93], v[60:61], v[34:35]
	v_mul_f64 v[94:95], v[62:63], v[34:35]
	;; [unrolled: 1-line block ×18, first 2 shown]
	v_fma_f64 v[28:29], v[28:29], v[32:33], -v[92:93]
	v_fma_f64 v[30:31], v[30:31], v[32:33], -v[94:95]
	v_mul_f64 v[92:93], v[52:53], v[38:39]
	v_mul_f64 v[94:95], v[12:13], v[38:39]
	v_fma_f64 v[60:61], v[60:61], v[32:33], v[96:97]
	v_fma_f64 v[62:63], v[62:63], v[32:33], v[98:99]
	v_mul_f64 v[96:97], v[54:55], v[38:39]
	v_mul_f64 v[98:99], v[14:15], v[38:39]
	v_fma_f64 v[20:21], v[20:21], v[36:37], -v[100:101]
	v_fma_f64 v[22:23], v[22:23], v[36:37], -v[103:104]
	v_mul_f64 v[100:101], v[44:45], v[34:35]
	v_mul_f64 v[103:104], v[8:9], v[34:35]
	v_fma_f64 v[56:57], v[56:57], v[36:37], v[105:106]
	v_fma_f64 v[58:59], v[58:59], v[36:37], v[131:132]
	v_mul_f64 v[105:106], v[40:41], v[38:39]
	v_mul_f64 v[38:39], v[4:5], v[38:39]
	v_fma_f64 v[84:85], v[84:85], v[36:37], -v[133:134]
	v_mul_f64 v[131:132], v[46:47], v[34:35]
	v_fma_f64 v[90:91], v[90:91], v[36:37], v[141:142]
	v_mul_f64 v[34:35], v[10:11], v[34:35]
	v_fma_f64 v[6:7], v[6:7], v[32:33], -v[143:144]
	v_fma_f64 v[42:43], v[42:43], v[32:33], v[149:150]
	v_fma_f64 v[2:3], v[2:3], v[36:37], -v[151:152]
	v_fma_f64 v[26:27], v[26:27], v[36:37], v[153:154]
	v_fma_f64 v[16:17], v[16:17], v[32:33], -v[135:136]
	v_fma_f64 v[18:19], v[18:19], v[32:33], -v[139:140]
	v_fma_f64 v[48:49], v[48:49], v[32:33], v[145:146]
	v_fma_f64 v[50:51], v[50:51], v[32:33], v[147:148]
	v_fma_f64 v[12:13], v[12:13], v[36:37], -v[92:93]
	v_fma_f64 v[52:53], v[52:53], v[36:37], v[94:95]
	v_fma_f64 v[14:15], v[14:15], v[36:37], -v[96:97]
	;; [unrolled: 2-line block ×3, first 2 shown]
	v_fma_f64 v[44:45], v[44:45], v[32:33], v[103:104]
	v_add_f64 v[103:104], v[20:21], v[30:31]
	v_add_f64 v[141:142], v[82:83], v[58:59]
	v_fma_f64 v[4:5], v[4:5], v[36:37], -v[105:106]
	v_fma_f64 v[36:37], v[40:41], v[36:37], v[38:39]
	v_add_f64 v[105:106], v[56:57], -v[62:63]
	v_fma_f64 v[10:11], v[10:11], v[32:33], -v[131:132]
	v_add_f64 v[131:132], v[86:87], v[56:57]
	v_fma_f64 v[32:33], v[46:47], v[32:33], v[34:35]
	v_add_f64 v[38:39], v[84:85], v[6:7]
	v_add_f64 v[40:41], v[90:91], -v[42:43]
	v_add_f64 v[46:47], v[24:25], v[90:91]
	v_add_f64 v[90:91], v[90:91], v[42:43]
	;; [unrolled: 1-line block ×6, first 2 shown]
	v_add_f64 v[96:97], v[26:27], -v[60:61]
	v_add_f64 v[26:27], v[26:27], v[60:61]
	v_add_f64 v[56:57], v[56:57], v[62:63]
	v_add_f64 v[2:3], v[2:3], -v[28:29]
	v_add_f64 v[135:136], v[22:23], v[16:17]
	v_add_f64 v[139:140], v[58:59], -v[48:49]
	;; [unrolled: 2-line block ×4, first 2 shown]
	v_mul_u32_u24_sdwa v133, v119, v102 dst_sel:DWORD dst_unused:UNUSED_PAD src0_sel:BYTE_0 src1_sel:DWORD
	v_add_f64 v[100:101], v[72:73], v[20:21]
	v_add_f64 v[20:21], v[20:21], -v[30:31]
	v_fma_f64 v[72:73], v[103:104], -0.5, v[72:73]
	v_fma_f64 v[0:1], v[38:39], -0.5, v[0:1]
	v_add_f64 v[38:39], v[80:81], v[52:53]
	v_add_f64 v[52:53], v[52:53], v[50:51]
	v_fma_f64 v[24:25], v[90:91], -0.5, v[24:25]
	v_add_f64 v[90:91], v[14:15], v[8:9]
	v_add_f64 v[28:29], v[92:93], v[28:29]
	;; [unrolled: 1-line block ×9, first 2 shown]
	v_fma_f64 v[74:75], v[94:95], -0.5, v[74:75]
	v_fma_f64 v[26:27], v[26:27], -0.5, v[88:89]
	;; [unrolled: 1-line block ×3, first 2 shown]
	v_lshlrev_b32_e32 v153, 4, v133
	v_add_f64 v[133:134], v[70:71], v[22:23]
	v_add_f64 v[22:23], v[22:23], -v[16:17]
	v_add_f64 v[149:150], v[64:65], v[14:15]
	v_add_f64 v[151:152], v[78:79], v[54:55]
	;; [unrolled: 1-line block ×3, first 2 shown]
	v_add_f64 v[54:55], v[54:55], -v[44:45]
	v_add_f64 v[36:37], v[36:37], -v[32:33]
	v_fma_f64 v[70:71], v[135:136], -0.5, v[70:71]
	v_fma_f64 v[58:59], v[58:59], -0.5, v[82:83]
	v_add_f64 v[38:39], v[38:39], v[50:51]
	v_fma_f64 v[50:51], v[52:53], -0.5, v[80:81]
	v_fma_f64 v[52:53], v[90:91], -0.5, v[64:65]
	;; [unrolled: 1-line block ×3, first 2 shown]
	v_add_f64 v[143:144], v[66:67], v[12:13]
	v_add_f64 v[12:13], v[12:13], -v[18:19]
	v_fma_f64 v[66:67], v[145:146], -0.5, v[66:67]
	v_add_f64 v[14:15], v[14:15], -v[8:9]
	v_fma_f64 v[34:35], v[34:35], -0.5, v[78:79]
	v_add_f64 v[4:5], v[4:5], -v[10:11]
	v_add_f64 v[10:11], v[46:47], v[10:11]
	v_fma_f64 v[46:47], v[98:99], -0.5, v[76:77]
	v_fma_f64 v[68:69], v[40:41], s[0:1], v[0:1]
	v_fma_f64 v[0:1], v[40:41], s[6:7], v[0:1]
	v_fma_f64 v[40:41], v[84:85], s[6:7], v[24:25]
	v_fma_f64 v[24:25], v[84:85], s[0:1], v[24:25]
	v_fma_f64 v[76:77], v[96:97], s[0:1], v[74:75]
	v_fma_f64 v[80:81], v[2:3], s[6:7], v[26:27]
	v_fma_f64 v[74:75], v[96:97], s[6:7], v[74:75]
	v_fma_f64 v[26:27], v[2:3], s[0:1], v[26:27]
	v_add_f64 v[30:31], v[100:101], v[30:31]
	v_add_f64 v[62:63], v[131:132], v[62:63]
	v_fma_f64 v[2:3], v[105:106], s[0:1], v[72:73]
	v_fma_f64 v[82:83], v[20:21], s[6:7], v[56:57]
	;; [unrolled: 1-line block ×4, first 2 shown]
	v_add_f64 v[16:17], v[133:134], v[16:17]
	v_add_f64 v[48:49], v[141:142], v[48:49]
	v_fma_f64 v[56:57], v[139:140], s[0:1], v[70:71]
	v_fma_f64 v[84:85], v[54:55], s[0:1], v[52:53]
	v_fma_f64 v[52:53], v[54:55], s[6:7], v[52:53]
	v_fma_f64 v[54:55], v[36:37], s[0:1], v[64:65]
	v_fma_f64 v[36:37], v[36:37], s[6:7], v[64:65]
	v_fma_f64 v[64:65], v[22:23], s[6:7], v[58:59]
	v_fma_f64 v[70:71], v[139:140], s[6:7], v[70:71]
	v_fma_f64 v[22:23], v[22:23], s[0:1], v[58:59]
	v_add_f64 v[18:19], v[143:144], v[18:19]
	v_fma_f64 v[78:79], v[147:148], s[0:1], v[66:67]
	v_fma_f64 v[58:59], v[12:13], s[6:7], v[50:51]
	;; [unrolled: 1-line block ×4, first 2 shown]
	v_add_f64 v[8:9], v[149:150], v[8:9]
	v_add_f64 v[44:45], v[151:152], v[44:45]
	v_fma_f64 v[86:87], v[14:15], s[6:7], v[34:35]
	v_fma_f64 v[34:35], v[14:15], s[0:1], v[34:35]
	v_add_f64 v[32:33], v[94:95], v[32:33]
	v_fma_f64 v[88:89], v[4:5], s[6:7], v[46:47]
	v_fma_f64 v[46:47], v[4:5], s[0:1], v[46:47]
	ds_write2_b64 v137, v[6:7], v[68:69] offset1:8
	ds_write_b64 v137, v[0:1] offset:128
	ds_write2_b64 v155, v[28:29], v[76:77] offset1:8
	ds_write_b64 v155, v[74:75] offset:128
	;; [unrolled: 2-line block ×7, first 2 shown]
	s_waitcnt lgkmcnt(0)
	s_barrier
	buffer_gl0_inv
	ds_read2_b64 v[0:3], v125 offset1:224
	ds_read_b64 v[96:97], v129
	ds_read2_b64 v[16:19], v109 offset0:104 offset1:160
	ds_read2_b64 v[132:135], v108 offset0:72 offset1:128
	;; [unrolled: 1-line block ×3, first 2 shown]
	ds_read_b64 v[94:95], v124
	ds_read2_b64 v[76:79], v130 offset0:24 offset1:136
	ds_read2_b64 v[68:71], v111 offset0:64 offset1:176
	;; [unrolled: 1-line block ×4, first 2 shown]
	ds_read_b64 v[98:99], v128
	ds_read_b64 v[100:101], v127
	;; [unrolled: 1-line block ×3, first 2 shown]
	s_waitcnt lgkmcnt(0)
	s_barrier
	buffer_gl0_inv
	ds_write2_b64 v137, v[42:43], v[40:41] offset1:8
	ds_write_b64 v137, v[24:25] offset:128
	ds_write2_b64 v155, v[60:61], v[80:81] offset1:8
	ds_write_b64 v155, v[26:27] offset:128
	;; [unrolled: 2-line block ×7, first 2 shown]
	v_lshlrev_b32_e32 v24, 4, v160
	s_waitcnt lgkmcnt(0)
	s_barrier
	buffer_gl0_inv
	s_clause 0x1
	global_load_dwordx4 v[139:142], v153, s[12:13] offset:416
	global_load_dwordx4 v[143:146], v24, s[12:13] offset:416
	v_lshrrev_b16 v131, 12, v107
	s_mov_b32 s0, 0x37e14327
	s_mov_b32 s6, 0x429ad128
	s_mov_b32 s1, 0x3fe948f6
	s_mov_b32 s7, 0x3febfeb5
	v_mul_lo_u16 v20, v131, 24
	v_sub_nc_u16 v121, v123, v20
	v_mul_u32_u24_sdwa v20, v121, v102 dst_sel:DWORD dst_unused:UNUSED_PAD src0_sel:BYTE_0 src1_sel:DWORD
	v_lshlrev_b32_e32 v52, 4, v20
	s_clause 0xf
	global_load_dwordx4 v[147:150], v24, s[12:13] offset:368
	global_load_dwordx4 v[84:87], v52, s[12:13] offset:352
	;; [unrolled: 1-line block ×16, first 2 shown]
	ds_read2_b64 v[151:154], v108 offset0:72 offset1:128
	ds_read2_b64 v[155:158], v130 offset0:24 offset1:136
	;; [unrolled: 1-line block ×3, first 2 shown]
	s_waitcnt vmcnt(17) lgkmcnt(2)
	v_mul_f64 v[102:103], v[151:152], v[141:142]
	v_mul_f64 v[106:107], v[132:133], v[141:142]
	s_waitcnt vmcnt(16)
	v_mul_f64 v[136:137], v[153:154], v[145:146]
	v_mul_f64 v[141:142], v[134:135], v[145:146]
	s_waitcnt vmcnt(15)
	v_mul_f64 v[145:146], v[78:79], v[149:150]
	v_fma_f64 v[104:105], v[132:133], v[139:140], -v[102:103]
	v_fma_f64 v[106:107], v[151:152], v[139:140], v[106:107]
	s_waitcnt lgkmcnt(1)
	v_mul_f64 v[139:140], v[157:158], v[149:150]
	v_fma_f64 v[102:103], v[134:135], v[143:144], -v[136:137]
	s_waitcnt vmcnt(14)
	v_mul_f64 v[136:137], v[155:156], v[86:87]
	v_mul_f64 v[149:150], v[76:77], v[86:87]
	v_fma_f64 v[86:87], v[153:154], v[143:144], v[141:142]
	ds_read2_b64 v[132:135], v109 offset0:104 offset1:160
	s_waitcnt vmcnt(13) lgkmcnt(1)
	v_mul_f64 v[141:142], v[90:91], v[82:83]
	v_mul_f64 v[143:144], v[70:71], v[82:83]
	ds_read_b64 v[153:154], v129
	v_fma_f64 v[82:83], v[157:158], v[147:148], v[145:146]
	v_mov_b32_e32 v157, 0x540
	v_mov_b32_e32 v158, 3
	v_mul_u32_u24_sdwa v131, v131, v157 dst_sel:DWORD dst_unused:UNUSED_PAD src0_sel:WORD_0 src1_sel:DWORD
	v_fma_f64 v[78:79], v[78:79], v[147:148], -v[139:140]
	s_waitcnt vmcnt(12)
	v_mul_f64 v[139:140], v[88:89], v[74:75]
	v_fma_f64 v[76:77], v[76:77], v[84:85], -v[136:137]
	ds_read_b64 v[136:137], v127
	v_mul_f64 v[74:75], v[68:69], v[74:75]
	s_waitcnt vmcnt(11) lgkmcnt(2)
	v_mul_f64 v[145:146], v[134:135], v[62:63]
	s_waitcnt vmcnt(10)
	v_mul_f64 v[147:148], v[132:133], v[66:67]
	v_mul_f64 v[62:63], v[18:19], v[62:63]
	v_fma_f64 v[141:142], v[70:71], v[80:81], -v[141:142]
	v_fma_f64 v[80:81], v[90:91], v[80:81], v[143:144]
	ds_read_b64 v[90:91], v128
	v_fma_f64 v[84:85], v[155:156], v[84:85], v[149:150]
	v_mul_f64 v[149:150], v[16:17], v[66:67]
	ds_read_b64 v[143:144], v126
	s_waitcnt vmcnt(9) lgkmcnt(2)
	v_mul_f64 v[151:152], v[136:137], v[50:51]
	v_mul_f64 v[50:51], v[100:101], v[50:51]
	v_fma_f64 v[139:140], v[68:69], v[72:73], -v[139:140]
	ds_read2_b64 v[66:69], v108 offset0:184 offset1:240
	v_fma_f64 v[74:75], v[88:89], v[72:73], v[74:75]
	v_fma_f64 v[88:89], v[18:19], v[60:61], -v[145:146]
	v_fma_f64 v[145:146], v[16:17], v[64:65], -v[147:148]
	s_waitcnt vmcnt(8) lgkmcnt(2)
	v_mul_f64 v[147:148], v[90:91], v[46:47]
	v_mul_f64 v[46:47], v[98:99], v[46:47]
	v_fma_f64 v[134:135], v[134:135], v[60:61], v[62:63]
	ds_read2_b64 v[60:63], v125 offset1:224
	ds_read2_b64 v[70:73], v118 offset0:40 offset1:96
	v_fma_f64 v[64:65], v[132:133], v[64:65], v[149:150]
	s_waitcnt vmcnt(7)
	v_mul_f64 v[132:133], v[153:154], v[42:43]
	v_mul_f64 v[42:43], v[96:97], v[42:43]
	ds_read2_b64 v[16:19], v110 offset0:88 offset1:144
	v_lshlrev_b32_sdwa v149, v158, v119 dst_sel:DWORD dst_unused:UNUSED_PAD src0_sel:DWORD src1_sel:BYTE_0
	v_lshlrev_b32_sdwa v150, v158, v120 dst_sel:DWORD dst_unused:UNUSED_PAD src0_sel:DWORD src1_sel:BYTE_0
	v_fma_f64 v[100:101], v[100:101], v[48:49], -v[151:152]
	v_fma_f64 v[48:49], v[136:137], v[48:49], v[50:51]
	s_waitcnt vmcnt(6) lgkmcnt(3)
	v_mul_f64 v[50:51], v[68:69], v[38:39]
	v_mul_f64 v[38:39], v[6:7], v[38:39]
	v_mul_u32_u24_sdwa v136, v116, v157 dst_sel:DWORD dst_unused:UNUSED_PAD src0_sel:WORD_0 src1_sel:DWORD
	v_mul_u32_u24_sdwa v137, v117, v157 dst_sel:DWORD dst_unused:UNUSED_PAD src0_sel:WORD_0 src1_sel:DWORD
	v_fma_f64 v[98:99], v[98:99], v[44:45], -v[147:148]
	s_waitcnt vmcnt(5) lgkmcnt(2)
	v_mul_f64 v[116:117], v[62:63], v[30:31]
	v_mul_f64 v[30:31], v[2:3], v[30:31]
	v_fma_f64 v[44:45], v[90:91], v[44:45], v[46:47]
	s_waitcnt vmcnt(3) lgkmcnt(1)
	v_mul_f64 v[46:47], v[70:71], v[34:35]
	v_mul_f64 v[34:35], v[8:9], v[34:35]
	v_fma_f64 v[90:91], v[96:97], v[40:41], -v[132:133]
	v_fma_f64 v[40:41], v[153:154], v[40:41], v[42:43]
	s_waitcnt vmcnt(1)
	v_mul_f64 v[42:43], v[66:67], v[58:59]
	s_waitcnt lgkmcnt(0)
	v_mul_f64 v[119:120], v[16:17], v[22:23]
	v_mul_f64 v[22:23], v[12:13], v[22:23]
	v_mul_f64 v[96:97], v[18:19], v[26:27]
	v_mul_f64 v[26:27], v[14:15], v[26:27]
	v_mul_f64 v[58:59], v[4:5], v[58:59]
	v_add3_u32 v153, 0, v136, v149
	v_add3_u32 v137, 0, v137, v150
	v_fma_f64 v[6:7], v[6:7], v[36:37], -v[50:51]
	v_fma_f64 v[36:37], v[68:69], v[36:37], v[38:39]
	s_waitcnt vmcnt(0)
	v_mul_f64 v[38:39], v[72:73], v[54:55]
	v_mul_f64 v[50:51], v[10:11], v[54:55]
	v_lshlrev_b32_sdwa v54, v158, v121 dst_sel:DWORD dst_unused:UNUSED_PAD src0_sel:DWORD src1_sel:BYTE_0
	v_fma_f64 v[2:3], v[2:3], v[28:29], -v[116:117]
	v_fma_f64 v[28:29], v[62:63], v[28:29], v[30:31]
	v_fma_f64 v[8:9], v[8:9], v[32:33], -v[46:47]
	v_fma_f64 v[30:31], v[70:71], v[32:33], v[34:35]
	v_add_f64 v[34:35], v[98:99], v[104:105]
	v_add_f64 v[46:47], v[40:41], v[134:135]
	v_fma_f64 v[4:5], v[4:5], v[56:57], -v[42:43]
	v_fma_f64 v[12:13], v[12:13], v[20:21], -v[119:120]
	v_fma_f64 v[16:17], v[16:17], v[20:21], v[22:23]
	v_fma_f64 v[14:15], v[14:15], v[24:25], -v[96:97]
	v_fma_f64 v[18:19], v[18:19], v[24:25], v[26:27]
	v_fma_f64 v[20:21], v[66:67], v[56:57], v[58:59]
	v_add_f64 v[42:43], v[44:45], -v[106:107]
	v_add_f64 v[40:41], v[134:135], -v[40:41]
	;; [unrolled: 1-line block ×3, first 2 shown]
	v_add_f64 v[24:25], v[100:101], v[6:7]
	v_add_f64 v[26:27], v[48:49], v[36:37]
	v_fma_f64 v[10:11], v[10:11], v[52:53], -v[38:39]
	v_fma_f64 v[22:23], v[72:73], v[52:53], v[50:51]
	v_add_f64 v[32:33], v[48:49], -v[36:37]
	v_add_f64 v[36:37], v[44:45], v[106:107]
	v_add_f64 v[38:39], v[98:99], -v[104:105]
	v_add_f64 v[44:45], v[90:91], v[88:89]
	;; [unrolled: 2-line block ×3, first 2 shown]
	v_add_f64 v[52:53], v[28:29], v[30:31]
	v_add_f64 v[2:3], v[2:3], -v[8:9]
	v_add_f64 v[8:9], v[28:29], -v[30:31]
	v_add_f64 v[28:29], v[78:79], v[102:103]
	v_add_f64 v[72:73], v[139:140], v[4:5]
	v_add_f64 v[6:7], v[100:101], -v[6:7]
	v_add_f64 v[30:31], v[82:83], v[86:87]
	v_add_f64 v[62:63], v[141:142], v[12:13]
	;; [unrolled: 1-line block ×3, first 2 shown]
	v_add_f64 v[18:19], v[18:19], -v[64:65]
	v_add_f64 v[66:67], v[80:81], v[16:17]
	v_add_f64 v[16:17], v[16:17], -v[80:81]
	v_add_f64 v[64:65], v[34:35], v[24:25]
	;; [unrolled: 2-line block ×3, first 2 shown]
	v_add_f64 v[70:71], v[84:85], v[22:23]
	v_add_f64 v[10:11], v[76:77], -v[10:11]
	v_add_f64 v[76:77], v[74:75], v[20:21]
	v_add_f64 v[80:81], v[36:37], v[26:27]
	v_add_f64 v[12:13], v[12:13], -v[141:142]
	v_add_f64 v[22:23], v[84:85], -v[22:23]
	;; [unrolled: 1-line block ×4, first 2 shown]
	v_add_f64 v[74:75], v[145:146], v[14:15]
	v_add_f64 v[14:15], v[14:15], -v[145:146]
	v_add_f64 v[82:83], v[34:35], -v[24:25]
	;; [unrolled: 1-line block ×7, first 2 shown]
	v_add_f64 v[86:87], v[48:49], v[38:39]
	v_add_f64 v[88:89], v[40:41], v[42:43]
	v_add_f64 v[90:91], v[48:49], -v[38:39]
	v_add_f64 v[96:97], v[40:41], -v[42:43]
	v_add_f64 v[42:43], v[42:43], -v[32:33]
	v_add_f64 v[98:99], v[28:29], v[50:51]
	v_add_f64 v[133:134], v[72:73], v[68:69]
	v_add_f64 v[38:39], v[38:39], -v[6:7]
	v_add_f64 v[100:101], v[30:31], v[52:53]
	v_add_f64 v[102:103], v[28:29], -v[50:51]
	v_add_f64 v[28:29], v[62:63], -v[28:29]
	v_add_f64 v[135:136], v[76:77], v[70:71]
	v_add_f64 v[44:45], v[44:45], v[64:65]
	v_add_f64 v[46:47], v[46:47], v[80:81]
	v_add3_u32 v154, 0, v131, v54
	ds_read_b64 v[54:55], v124
	v_add_f64 v[48:49], v[6:7], -v[48:49]
	v_add_f64 v[40:41], v[32:33], -v[40:41]
	;; [unrolled: 1-line block ×6, first 2 shown]
	v_add_f64 v[106:107], v[12:13], v[56:57]
	v_add_f64 v[116:117], v[16:17], v[58:59]
	v_add_f64 v[119:120], v[12:13], -v[56:57]
	v_add_f64 v[131:132], v[16:17], -v[58:59]
	;; [unrolled: 1-line block ×3, first 2 shown]
	v_add_f64 v[145:146], v[14:15], v[4:5]
	v_add_f64 v[147:148], v[18:19], v[20:21]
	v_add_f64 v[149:150], v[14:15], -v[4:5]
	v_add_f64 v[151:152], v[18:19], -v[20:21]
	;; [unrolled: 1-line block ×4, first 2 shown]
	v_add_f64 v[6:7], v[86:87], v[6:7]
	v_add_f64 v[32:33], v[88:89], v[32:33]
	v_mul_f64 v[24:25], v[24:25], s[0:1]
	v_mul_f64 v[26:27], v[26:27], s[0:1]
	;; [unrolled: 1-line block ×3, first 2 shown]
	v_add_f64 v[62:63], v[62:63], v[98:99]
	v_mul_f64 v[80:81], v[36:37], s[24:25]
	v_mul_f64 v[86:87], v[90:91], s[26:27]
	;; [unrolled: 1-line block ×4, first 2 shown]
	v_add_f64 v[58:59], v[58:59], -v[8:9]
	v_add_f64 v[139:140], v[72:73], -v[68:69]
	;; [unrolled: 1-line block ×4, first 2 shown]
	v_add_f64 v[74:75], v[74:75], v[133:134]
	v_add_f64 v[141:142], v[76:77], -v[70:71]
	v_add_f64 v[70:71], v[70:71], -v[78:79]
	;; [unrolled: 1-line block ×3, first 2 shown]
	v_add_f64 v[66:67], v[66:67], v[100:101]
	v_mul_f64 v[90:91], v[38:39], s[6:7]
	v_mul_f64 v[98:99], v[28:29], s[24:25]
	v_add_f64 v[78:79], v[78:79], v[135:136]
	v_add_f64 v[0:1], v[0:1], v[44:45]
	;; [unrolled: 1-line block ×3, first 2 shown]
	v_add_f64 v[12:13], v[2:3], -v[12:13]
	v_add_f64 v[16:17], v[8:9], -v[16:17]
	;; [unrolled: 1-line block ×4, first 2 shown]
	v_add_f64 v[2:3], v[106:107], v[2:3]
	v_add_f64 v[8:9], v[116:117], v[8:9]
	v_mul_f64 v[50:51], v[50:51], s[0:1]
	v_mul_f64 v[52:53], v[52:53], s[0:1]
	;; [unrolled: 1-line block ×6, first 2 shown]
	v_add_f64 v[10:11], v[145:146], v[10:11]
	v_add_f64 v[22:23], v[147:148], v[22:23]
	v_mul_f64 v[145:146], v[149:150], s[26:27]
	v_mul_f64 v[147:148], v[151:152], s[26:27]
	;; [unrolled: 1-line block ×4, first 2 shown]
	v_fma_f64 v[34:35], v[34:35], s[24:25], v[24:25]
	v_fma_f64 v[64:65], v[82:83], s[16:17], -v[64:65]
	v_fma_f64 v[24:25], v[82:83], s[18:19], -v[24:25]
	v_fma_f64 v[36:37], v[36:37], s[24:25], v[26:27]
	v_fma_f64 v[80:81], v[84:85], s[16:17], -v[80:81]
	v_fma_f64 v[26:27], v[84:85], s[18:19], -v[26:27]
	v_fma_f64 v[82:83], v[48:49], s[20:21], v[86:87]
	v_fma_f64 v[38:39], v[38:39], s[6:7], -v[86:87]
	v_fma_f64 v[84:85], v[40:41], s[20:21], v[88:89]
	v_fma_f64 v[42:43], v[42:43], s[6:7], -v[88:89]
	v_fma_f64 v[40:41], v[40:41], s[22:23], -v[96:97]
	v_add_f64 v[86:87], v[94:95], v[62:63]
	v_mul_f64 v[131:132], v[58:59], s[6:7]
	v_mul_f64 v[68:69], v[68:69], s[0:1]
	v_add_f64 v[92:93], v[92:93], v[74:75]
	v_mul_f64 v[133:134], v[72:73], s[24:25]
	v_mul_f64 v[70:71], v[70:71], s[0:1]
	;; [unrolled: 1-line block ×3, first 2 shown]
	v_fma_f64 v[48:49], v[48:49], s[22:23], -v[90:91]
	s_waitcnt lgkmcnt(0)
	v_add_f64 v[54:55], v[54:55], v[66:67]
	v_fma_f64 v[88:89], v[102:103], s[16:17], -v[98:99]
	v_add_f64 v[98:99], v[143:144], v[78:79]
	v_fma_f64 v[44:45], v[44:45], s[8:9], v[0:1]
	v_fma_f64 v[46:47], v[46:47], s[8:9], v[60:61]
	;; [unrolled: 1-line block ×4, first 2 shown]
	v_fma_f64 v[90:91], v[104:105], s[16:17], -v[100:101]
	v_fma_f64 v[52:53], v[104:105], s[18:19], -v[52:53]
	v_fma_f64 v[94:95], v[12:13], s[20:21], v[106:107]
	v_fma_f64 v[96:97], v[16:17], s[20:21], v[116:117]
	v_fma_f64 v[56:57], v[56:57], s[6:7], -v[106:107]
	v_fma_f64 v[12:13], v[12:13], s[22:23], -v[119:120]
	v_fma_f64 v[104:105], v[14:15], s[20:21], v[145:146]
	v_fma_f64 v[106:107], v[18:19], s[20:21], v[147:148]
	v_fma_f64 v[4:5], v[4:5], s[6:7], -v[145:146]
	v_fma_f64 v[14:15], v[14:15], s[22:23], -v[149:150]
	;; [unrolled: 1-line block ×3, first 2 shown]
	v_fma_f64 v[84:85], v[32:33], s[14:15], v[84:85]
	v_fma_f64 v[42:43], v[32:33], s[14:15], v[42:43]
	;; [unrolled: 1-line block ×4, first 2 shown]
	v_fma_f64 v[50:51], v[102:103], s[18:19], -v[50:51]
	v_fma_f64 v[58:59], v[58:59], s[6:7], -v[116:117]
	;; [unrolled: 1-line block ×3, first 2 shown]
	v_fma_f64 v[72:73], v[72:73], s[24:25], v[68:69]
	v_fma_f64 v[74:75], v[74:75], s[8:9], v[92:93]
	v_fma_f64 v[100:101], v[139:140], s[16:17], -v[133:134]
	v_fma_f64 v[68:69], v[139:140], s[18:19], -v[68:69]
	;; [unrolled: 1-line block ×3, first 2 shown]
	v_fma_f64 v[76:77], v[76:77], s[24:25], v[70:71]
	v_fma_f64 v[102:103], v[141:142], s[16:17], -v[135:136]
	v_fma_f64 v[70:71], v[141:142], s[18:19], -v[70:71]
	v_fma_f64 v[82:83], v[6:7], s[14:15], v[82:83]
	v_fma_f64 v[38:39], v[6:7], s[14:15], v[38:39]
	;; [unrolled: 1-line block ×5, first 2 shown]
	v_add_f64 v[34:35], v[34:35], v[44:45]
	v_add_f64 v[24:25], v[24:25], v[44:45]
	;; [unrolled: 1-line block ×4, first 2 shown]
	v_fma_f64 v[62:63], v[2:3], s[14:15], v[94:95]
	v_fma_f64 v[66:67], v[8:9], s[14:15], v[96:97]
	;; [unrolled: 1-line block ×8, first 2 shown]
	v_add_f64 v[18:19], v[28:29], v[40:41]
	v_fma_f64 v[58:59], v[8:9], s[14:15], v[58:59]
	v_fma_f64 v[8:9], v[8:9], s[14:15], v[16:17]
	v_add_f64 v[36:37], v[36:37], v[46:47]
	v_add_f64 v[28:29], v[88:89], v[40:41]
	;; [unrolled: 1-line block ×3, first 2 shown]
	v_fma_f64 v[16:17], v[22:23], s[14:15], v[106:107]
	v_add_f64 v[50:51], v[72:73], v[74:75]
	v_fma_f64 v[20:21], v[22:23], s[14:15], v[20:21]
	v_add_f64 v[64:65], v[100:101], v[74:75]
	v_add_f64 v[68:69], v[68:69], v[74:75]
	;; [unrolled: 1-line block ×11, first 2 shown]
	v_add_f64 v[88:89], v[44:45], -v[42:43]
	v_add_f64 v[42:43], v[42:43], v[44:45]
	v_add_f64 v[24:25], v[24:25], -v[32:33]
	v_add_f64 v[80:81], v[26:27], -v[6:7]
	v_add_f64 v[32:33], v[6:7], v[26:27]
	v_add_f64 v[6:7], v[34:35], -v[84:85]
	v_add_f64 v[26:27], v[66:67], v[18:19]
	;; [unrolled: 2-line block ×3, first 2 shown]
	v_add_f64 v[44:45], v[8:9], v[40:41]
	v_add_f64 v[82:83], v[28:29], -v[58:59]
	v_add_f64 v[28:29], v[58:59], v[28:29]
	v_add_f64 v[8:9], v[40:41], -v[8:9]
	v_add_f64 v[18:19], v[18:19], -v[66:67]
	v_add_f64 v[40:41], v[16:17], v[50:51]
	v_add_f64 v[58:59], v[14:15], v[68:69]
	v_add_f64 v[66:67], v[64:65], -v[20:21]
	v_add_f64 v[20:21], v[20:21], v[64:65]
	v_add_f64 v[14:15], v[68:69], -v[14:15]
	v_add_f64 v[16:17], v[50:51], -v[16:17]
	s_barrier
	buffer_gl0_inv
	v_add_f64 v[90:91], v[38:39], v[46:47]
	v_add_f64 v[38:39], v[46:47], -v[38:39]
	v_add_f64 v[36:37], v[22:23], -v[62:63]
	;; [unrolled: 1-line block ×3, first 2 shown]
	v_add_f64 v[50:51], v[56:57], v[30:31]
	v_add_f64 v[56:57], v[30:31], -v[56:57]
	v_add_f64 v[48:49], v[2:3], v[48:49]
	v_add_f64 v[62:63], v[62:63], v[22:23]
	v_add_f64 v[64:65], v[52:53], -v[12:13]
	v_add_f64 v[68:69], v[70:71], -v[10:11]
	v_add_f64 v[84:85], v[4:5], v[72:73]
	v_add_f64 v[72:73], v[72:73], -v[4:5]
	v_add_f64 v[70:71], v[10:11], v[70:71]
	v_add_f64 v[52:53], v[12:13], v[52:53]
	ds_write2_b64 v153, v[0:1], v[74:75] offset1:24
	ds_write2_b64 v153, v[78:79], v[88:89] offset0:48 offset1:72
	ds_write2_b64 v153, v[42:43], v[24:25] offset0:96 offset1:120
	ds_write_b64 v153, v[6:7] offset:1152
	ds_write2_b64 v137, v[86:87], v[26:27] offset1:24
	ds_write2_b64 v137, v[44:45], v[82:83] offset0:48 offset1:72
	ds_write2_b64 v137, v[28:29], v[8:9] offset0:96 offset1:120
	ds_write_b64 v137, v[18:19] offset:1152
	;; [unrolled: 4-line block ×3, first 2 shown]
	s_waitcnt lgkmcnt(0)
	s_barrier
	buffer_gl0_inv
	ds_read2_b64 v[0:3], v125 offset1:224
	ds_read_b64 v[116:117], v129
	ds_read2_b64 v[24:27], v109 offset0:104 offset1:160
	ds_read2_b64 v[4:7], v108 offset0:72 offset1:128
	;; [unrolled: 1-line block ×3, first 2 shown]
	ds_read_b64 v[108:109], v124
	ds_read2_b64 v[8:11], v130 offset0:24 offset1:136
	ds_read2_b64 v[12:15], v111 offset0:64 offset1:176
	;; [unrolled: 1-line block ×4, first 2 shown]
	ds_read_b64 v[118:119], v128
	ds_read_b64 v[120:121], v127
	;; [unrolled: 1-line block ×3, first 2 shown]
	s_waitcnt lgkmcnt(0)
	s_barrier
	buffer_gl0_inv
	ds_write2_b64 v153, v[60:61], v[76:77] offset1:24
	ds_write2_b64 v153, v[80:81], v[90:91] offset0:48 offset1:72
	ds_write2_b64 v153, v[38:39], v[32:33] offset0:96 offset1:120
	ds_write_b64 v153, v[34:35] offset:1152
	ds_write2_b64 v137, v[54:55], v[36:37] offset1:24
	ds_write2_b64 v137, v[46:47], v[50:51] offset0:48 offset1:72
	ds_write2_b64 v137, v[56:57], v[48:49] offset0:96 offset1:120
	ds_write_b64 v137, v[62:63] offset:1152
	;; [unrolled: 4-line block ×3, first 2 shown]
	s_waitcnt lgkmcnt(0)
	s_barrier
	buffer_gl0_inv
	s_and_saveexec_b32 s28, vcc_lo
	s_cbranch_execz .LBB0_37
; %bb.36:
	v_mul_u32_u24_e32 v32, 6, v138
	v_mov_b32_e32 v33, 0
	v_mul_lo_u32 v134, s5, v114
	v_mul_lo_u32 v135, s4, v115
	v_mad_u64_u32 v[114:115], null, s4, v114, 0
	v_lshlrev_b32_e32 v34, 4, v32
	v_mul_i32_i24_e32 v32, 6, v123
	v_add_nc_u32_e32 v123, 0x1000, v125
	v_add_nc_u32_e32 v139, 0x2000, v125
	;; [unrolled: 1-line block ×3, first 2 shown]
	v_add_co_u32 v38, s28, s12, v34
	v_add_co_ci_u32_e64 v39, null, s13, 0, s28
	v_lshlrev_b64 v[34:35], 4, v[32:33]
	v_add_co_u32 v36, vcc_lo, 0xaa0, v38
	v_add_co_ci_u32_e32 v37, vcc_lo, 0, v39, vcc_lo
	v_mul_i32_i24_e32 v32, 6, v122
	v_add_co_u32 v42, vcc_lo, s12, v34
	v_add_co_ci_u32_e32 v43, vcc_lo, s13, v35, vcc_lo
	global_load_dwordx4 v[84:87], v[36:37], off offset:16
	v_add_co_u32 v34, vcc_lo, 0x800, v42
	v_add_co_ci_u32_e32 v35, vcc_lo, 0, v43, vcc_lo
	v_lshlrev_b64 v[32:33], 4, v[32:33]
	v_add_nc_u32_e32 v122, 0x1800, v125
	v_add_nc_u32_e32 v157, 0xc00, v125
	global_load_dwordx4 v[80:83], v[34:35], off offset:672
	v_add_co_u32 v36, vcc_lo, 0x800, v38
	v_add_co_ci_u32_e32 v37, vcc_lo, 0, v39, vcc_lo
	v_add_co_u32 v38, vcc_lo, 0xa60, v38
	v_add_co_ci_u32_e32 v39, vcc_lo, 0, v39, vcc_lo
	;; [unrolled: 2-line block ×3, first 2 shown]
	s_clause 0x3
	global_load_dwordx4 v[100:103], v[36:37], off offset:608
	global_load_dwordx4 v[88:91], v[38:39], off offset:48
	;; [unrolled: 1-line block ×4, first 2 shown]
	v_add_co_u32 v38, vcc_lo, 0xaa0, v42
	v_add_co_ci_u32_e32 v39, vcc_lo, 0, v43, vcc_lo
	s_clause 0x2
	global_load_dwordx4 v[68:71], v[36:37], off offset:672
	global_load_dwordx4 v[64:67], v[40:41], off offset:32
	;; [unrolled: 1-line block ×3, first 2 shown]
	v_add_co_u32 v54, vcc_lo, s12, v32
	v_add_co_ci_u32_e32 v55, vcc_lo, s13, v33, vcc_lo
	s_clause 0x2
	global_load_dwordx4 v[44:47], v[40:41], off offset:16
	global_load_dwordx4 v[72:75], v[34:35], off offset:608
	;; [unrolled: 1-line block ×3, first 2 shown]
	v_add_co_u32 v32, vcc_lo, 0xaa0, v54
	v_add_co_ci_u32_e32 v33, vcc_lo, 0, v55, vcc_lo
	v_add_co_u32 v52, vcc_lo, 0x800, v54
	v_add_co_ci_u32_e32 v53, vcc_lo, 0, v55, vcc_lo
	;; [unrolled: 2-line block ×3, first 2 shown]
	s_clause 0x5
	global_load_dwordx4 v[76:79], v[32:33], off offset:16
	global_load_dwordx4 v[36:39], v[52:53], off offset:608
	;; [unrolled: 1-line block ×6, first 2 shown]
	ds_read2_b64 v[141:144], v130 offset0:24 offset1:136
	v_lshrrev_b32_e32 v130, 3, v138
	ds_read_b64 v[165:166], v128
	ds_read_b64 v[167:168], v129
	v_add_nc_u32_e32 v184, 0x1400, v125
	ds_read2_b64 v[104:107], v125 offset1:224
	v_lshrrev_b32_e32 v145, 3, v140
	v_mul_hi_u32 v125, 0x18618619, v130
	v_add3_u32 v115, v115, v135, v134
	ds_read_b64 v[169:170], v127
	ds_read_b64 v[136:137], v126
	;; [unrolled: 1-line block ×3, first 2 shown]
	ds_read2_b64 v[128:131], v122 offset0:184 offset1:240
	v_lshlrev_b64 v[112:113], 4, v[112:113]
	v_mul_hi_u32 v124, 0x18618619, v145
	ds_read2_b64 v[145:148], v123 offset0:104 offset1:160
	ds_read2_b64 v[149:152], v139 offset0:40 offset1:96
	v_lshlrev_b64 v[114:115], 4, v[114:115]
	ds_read2_b64 v[153:156], v122 offset0:72 offset1:128
	v_lshrrev_b32_e32 v125, 1, v125
	ds_read2_b64 v[157:160], v157 offset0:64 offset1:176
	v_lshrrev_b32_e32 v161, 1, v124
	v_mul_lo_u32 v122, 0xa8, v125
	v_add_co_u32 v114, vcc_lo, s10, v114
	v_add_co_ci_u32_e32 v123, vcc_lo, s11, v115, vcc_lo
	v_mul_lo_u32 v124, 0xa8, v161
	v_add_co_u32 v115, vcc_lo, v114, v112
	v_sub_nc_u32_e32 v162, v138, v122
	v_add_co_ci_u32_e32 v139, vcc_lo, v123, v113, vcc_lo
	v_mad_u64_u32 v[122:123], null, s2, v162, 0
	v_add_nc_u32_e32 v163, 0xa8, v162
	v_add_nc_u32_e32 v164, 0x150, v162
	;; [unrolled: 1-line block ×3, first 2 shown]
	v_sub_nc_u32_e32 v112, v140, v124
	v_add_nc_u32_e32 v179, 0x2a0, v162
	v_mad_u64_u32 v[124:125], null, s2, v163, 0
	v_mad_u64_u32 v[126:127], null, s2, v164, 0
	v_add_nc_u32_e32 v182, 0x3f0, v162
	v_mad_u64_u32 v[134:135], null, s2, v177, 0
	v_mov_b32_e32 v114, v123
	v_add_nc_u32_e32 v180, 0x348, v162
	v_mad_u64_u32 v[112:113], null, 0x498, v161, v[112:113]
	v_mad_u64_u32 v[171:172], null, s2, v179, 0
	;; [unrolled: 1-line block ×3, first 2 shown]
	v_mov_b32_e32 v113, v125
	v_mad_u64_u32 v[161:162], null, s3, v162, v[114:115]
	v_mov_b32_e32 v114, v127
	v_mad_u64_u32 v[173:174], null, s2, v180, 0
	v_mov_b32_e32 v123, v135
	v_mov_b32_e32 v125, v172
	v_mad_u64_u32 v[162:163], null, s3, v163, v[113:114]
	v_mad_u64_u32 v[163:164], null, s3, v164, v[114:115]
	;; [unrolled: 1-line block ×3, first 2 shown]
	v_mov_b32_e32 v127, v176
	v_mov_b32_e32 v113, v174
	;; [unrolled: 1-line block ×3, first 2 shown]
	v_mad_u64_u32 v[178:179], null, s3, v179, v[125:126]
	v_mov_b32_e32 v125, v162
	s_waitcnt lgkmcnt(4)
	v_mad_u64_u32 v[182:183], null, s3, v182, v[127:128]
	v_mad_u64_u32 v[179:180], null, s3, v180, v[113:114]
	v_lshlrev_b64 v[122:123], 4, v[122:123]
	v_mad_u64_u32 v[180:181], null, s2, v112, 0
	v_mov_b32_e32 v127, v163
	v_mov_b32_e32 v135, v177
	v_add_nc_u32_e32 v185, 0xa8, v112
	v_lshlrev_b64 v[124:125], 4, v[124:125]
	v_mov_b32_e32 v176, v182
	v_lshlrev_b64 v[126:127], 4, v[126:127]
	v_lshlrev_b64 v[182:183], 4, v[134:135]
	v_add_co_u32 v134, vcc_lo, v115, v122
	v_mad_u64_u32 v[113:114], null, s2, v185, 0
	v_add_co_ci_u32_e32 v135, vcc_lo, v139, v123, vcc_lo
	v_mov_b32_e32 v177, v181
	v_add_co_u32 v122, vcc_lo, v115, v124
	v_add_co_ci_u32_e32 v123, vcc_lo, v139, v125, vcc_lo
	v_add_co_u32 v124, vcc_lo, v115, v126
	v_mov_b32_e32 v172, v178
	v_mad_u64_u32 v[177:178], null, s3, v112, v[177:178]
	v_add_co_ci_u32_e32 v125, vcc_lo, v139, v127, vcc_lo
	ds_read2_b64 v[161:164], v184 offset0:88 offset1:144
	v_mov_b32_e32 v174, v179
	v_mad_u64_u32 v[178:179], null, s3, v185, v[114:115]
	v_add_co_u32 v126, vcc_lo, v115, v182
	v_add_co_ci_u32_e32 v127, vcc_lo, v139, v183, vcc_lo
	v_lshlrev_b64 v[171:172], 4, v[171:172]
	v_lshlrev_b64 v[173:174], 4, v[173:174]
	;; [unrolled: 1-line block ×3, first 2 shown]
	v_mov_b32_e32 v181, v177
	v_mov_b32_e32 v114, v178
	v_add_nc_u32_e32 v140, 0x150, v112
	v_lshlrev_b64 v[179:180], 4, v[180:181]
	s_waitcnt vmcnt(17)
	v_mul_f64 v[184:185], v[86:87], v[130:131]
	v_mul_f64 v[186:187], v[84:85], v[130:131]
	s_waitcnt vmcnt(16)
	v_mul_f64 v[182:183], v[82:83], v[128:129]
	v_mul_f64 v[188:189], v[80:81], v[128:129]
	v_add_co_u32 v128, vcc_lo, v115, v171
	v_add_co_ci_u32_e32 v129, vcc_lo, v139, v172, vcc_lo
	v_add_co_u32 v130, vcc_lo, v115, v173
	v_add_co_ci_u32_e32 v131, vcc_lo, v139, v174, vcc_lo
	s_waitcnt vmcnt(15)
	v_mul_f64 v[171:172], v[102:103], v[169:170]
	v_mul_f64 v[169:170], v[100:101], v[169:170]
	v_fma_f64 v[173:174], v[30:31], v[84:85], -v[184:185]
	v_fma_f64 v[85:86], v[30:31], v[86:87], v[186:187]
	v_add_co_u32 v30, vcc_lo, v115, v175
	s_waitcnt vmcnt(13)
	v_mul_f64 v[184:185], v[98:99], v[165:166]
	v_mul_f64 v[165:166], v[96:97], v[165:166]
	v_add_co_ci_u32_e32 v31, vcc_lo, v139, v176, vcc_lo
	s_waitcnt vmcnt(12)
	v_mul_f64 v[175:176], v[94:95], v[167:168]
	v_mul_f64 v[167:168], v[92:93], v[167:168]
	v_fma_f64 v[80:81], v[28:29], v[80:81], -v[182:183]
	v_fma_f64 v[28:29], v[28:29], v[82:83], v[188:189]
	s_waitcnt lgkmcnt(4)
	v_mul_f64 v[82:83], v[90:91], v[147:148]
	v_mul_f64 v[147:148], v[88:89], v[147:148]
	s_waitcnt vmcnt(11) lgkmcnt(2)
	v_mul_f64 v[177:178], v[70:71], v[153:154]
	v_mul_f64 v[153:154], v[68:69], v[153:154]
	s_waitcnt vmcnt(10)
	v_mul_f64 v[182:183], v[66:67], v[145:146]
	v_mul_f64 v[145:146], v[64:65], v[145:146]
	v_add_nc_u32_e32 v84, 0x1f8, v112
	v_fma_f64 v[100:101], v[120:121], v[100:101], -v[171:172]
	v_fma_f64 v[102:103], v[120:121], v[102:103], v[169:170]
	s_waitcnt vmcnt(9)
	v_mul_f64 v[120:121], v[50:51], v[151:152]
	v_mul_f64 v[151:152], v[48:49], v[151:152]
	s_waitcnt vmcnt(7)
	v_mul_f64 v[169:170], v[74:75], v[141:142]
	v_fma_f64 v[96:97], v[118:119], v[96:97], -v[184:185]
	v_fma_f64 v[98:99], v[118:119], v[98:99], v[165:166]
	v_mul_f64 v[118:119], v[72:73], v[141:142]
	s_waitcnt lgkmcnt(1)
	v_mul_f64 v[141:142], v[46:47], v[157:158]
	v_mul_f64 v[157:158], v[44:45], v[157:158]
	v_fma_f64 v[92:93], v[116:117], v[92:93], -v[175:176]
	v_fma_f64 v[94:95], v[116:117], v[94:95], v[167:168]
	s_waitcnt vmcnt(6) lgkmcnt(0)
	v_mul_f64 v[116:117], v[42:43], v[163:164]
	v_mul_f64 v[163:164], v[40:41], v[163:164]
	s_waitcnt vmcnt(5)
	v_mul_f64 v[165:166], v[78:79], v[149:150]
	v_mul_f64 v[149:150], v[76:77], v[149:150]
	s_waitcnt vmcnt(4)
	v_mul_f64 v[167:168], v[38:39], v[106:107]
	v_fma_f64 v[82:83], v[26:27], v[88:89], -v[82:83]
	v_fma_f64 v[26:27], v[26:27], v[90:91], v[147:148]
	s_waitcnt vmcnt(3)
	v_mul_f64 v[87:88], v[34:35], v[161:162]
	s_waitcnt vmcnt(2)
	v_mul_f64 v[89:90], v[62:63], v[155:156]
	v_mul_f64 v[147:148], v[60:61], v[155:156]
	s_waitcnt vmcnt(1)
	v_mul_f64 v[155:156], v[58:59], v[143:144]
	;; [unrolled: 3-line block ×3, first 2 shown]
	v_mul_f64 v[159:160], v[52:53], v[159:160]
	v_mul_f64 v[106:107], v[36:37], v[106:107]
	;; [unrolled: 1-line block ×3, first 2 shown]
	v_fma_f64 v[68:69], v[4:5], v[68:69], -v[177:178]
	v_fma_f64 v[4:5], v[4:5], v[70:71], v[153:154]
	v_fma_f64 v[64:65], v[24:25], v[64:65], -v[182:183]
	v_fma_f64 v[24:25], v[24:25], v[66:67], v[145:146]
	;; [unrolled: 2-line block ×7, first 2 shown]
	v_fma_f64 v[36:37], v[2:3], v[36:37], -v[167:168]
	v_fma_f64 v[32:33], v[16:17], v[32:33], -v[87:88]
	v_add_f64 v[66:67], v[100:101], v[173:174]
	v_add_f64 v[70:71], v[82:83], v[92:93]
	v_fma_f64 v[46:47], v[14:15], v[52:53], -v[171:172]
	v_fma_f64 v[52:53], v[10:11], v[56:57], -v[155:156]
	v_fma_f64 v[56:57], v[6:7], v[60:61], -v[89:90]
	v_fma_f64 v[2:3], v[2:3], v[38:39], v[106:107]
	v_fma_f64 v[6:7], v[6:7], v[62:63], v[147:148]
	;; [unrolled: 1-line block ×5, first 2 shown]
	v_add_f64 v[54:55], v[96:97], -v[68:69]
	v_add_f64 v[58:59], v[102:103], v[85:86]
	v_add_f64 v[60:61], v[98:99], v[4:5]
	;; [unrolled: 1-line block ×3, first 2 shown]
	v_add_f64 v[34:35], v[100:101], -v[173:174]
	v_add_f64 v[38:39], v[82:83], -v[92:93]
	v_add_f64 v[62:63], v[26:27], v[94:95]
	v_add_f64 v[72:73], v[102:103], -v[85:86]
	v_add_f64 v[26:27], v[26:27], -v[94:95]
	;; [unrolled: 1-line block ×6, first 2 shown]
	v_add_f64 v[82:83], v[8:9], v[22:23]
	v_add_f64 v[85:86], v[12:13], v[28:29]
	v_add_f64 v[87:88], v[18:19], v[24:25]
	v_add_f64 v[48:49], v[50:51], v[48:49]
	v_add_f64 v[44:45], v[44:45], v[80:81]
	v_add_f64 v[40:41], v[40:41], v[64:65]
	v_add_f64 v[8:9], v[8:9], -v[22:23]
	v_add_f64 v[18:19], v[18:19], -v[24:25]
	;; [unrolled: 1-line block ×6, first 2 shown]
	v_add_f64 v[50:51], v[2:3], v[20:21]
	v_add_f64 v[64:65], v[10:11], v[6:7]
	v_add_f64 v[80:81], v[16:17], v[14:15]
	v_add_f64 v[36:37], v[36:37], v[42:43]
	v_add_f64 v[42:43], v[52:53], v[56:57]
	v_add_f64 v[32:33], v[32:33], v[46:47]
	v_add_f64 v[2:3], v[2:3], -v[20:21]
	v_add_f64 v[14:15], v[16:17], -v[14:15]
	;; [unrolled: 1-line block ×3, first 2 shown]
	v_add_f64 v[10:11], v[58:59], v[60:61]
	v_add_f64 v[16:17], v[66:67], v[68:69]
	v_add_f64 v[20:21], v[34:35], -v[38:39]
	v_add_f64 v[46:47], v[38:39], -v[54:55]
	v_add_f64 v[38:39], v[38:39], v[54:55]
	v_add_f64 v[52:53], v[58:59], -v[62:63]
	v_add_f64 v[56:57], v[62:63], -v[60:61]
	v_add_f64 v[89:90], v[66:67], -v[70:71]
	v_add_f64 v[91:92], v[70:71], -v[68:69]
	v_add_f64 v[93:94], v[72:73], -v[26:27]
	v_add_f64 v[95:96], v[26:27], -v[4:5]
	v_add_f64 v[26:27], v[26:27], v[4:5]
	v_add_f64 v[54:55], v[54:55], -v[34:35]
	v_add_f64 v[58:59], v[60:61], -v[58:59]
	;; [unrolled: 1-line block ×6, first 2 shown]
	v_add_f64 v[76:77], v[76:77], v[78:79]
	v_add_f64 v[97:98], v[82:83], v[85:86]
	v_add_f64 v[99:100], v[82:83], -v[87:88]
	v_add_f64 v[101:102], v[87:88], -v[85:86]
	v_add_f64 v[106:107], v[48:49], v[44:45]
	v_add_f64 v[116:117], v[48:49], -v[40:41]
	v_add_f64 v[118:119], v[40:41], -v[44:45]
	;; [unrolled: 1-line block ×4, first 2 shown]
	v_add_f64 v[18:19], v[18:19], v[12:13]
	v_add_f64 v[78:79], v[78:79], -v[74:75]
	v_add_f64 v[82:83], v[85:86], -v[82:83]
	;; [unrolled: 1-line block ×5, first 2 shown]
	v_add_f64 v[24:25], v[24:25], v[28:29]
	v_add_f64 v[143:144], v[50:51], v[64:65]
	v_add_f64 v[145:146], v[50:51], -v[80:81]
	v_add_f64 v[147:148], v[80:81], -v[64:65]
	v_add_f64 v[149:150], v[36:37], v[42:43]
	v_add_f64 v[50:51], v[64:65], -v[50:51]
	v_add_f64 v[64:65], v[36:37], -v[32:33]
	;; [unrolled: 1-line block ×6, first 2 shown]
	v_add_f64 v[14:15], v[14:15], v[6:7]
	v_add_f64 v[62:63], v[62:63], v[10:11]
	;; [unrolled: 1-line block ×3, first 2 shown]
	v_add_f64 v[12:13], v[12:13], -v[8:9]
	v_add_f64 v[28:29], v[28:29], -v[22:23]
	;; [unrolled: 1-line block ×3, first 2 shown]
	v_add_f64 v[34:35], v[34:35], v[38:39]
	v_add_f64 v[26:27], v[72:73], v[26:27]
	v_mul_f64 v[6:7], v[46:47], s[26:27]
	v_mul_f64 v[10:11], v[52:53], s[0:1]
	;; [unrolled: 1-line block ×8, first 2 shown]
	v_add_f64 v[74:75], v[74:75], v[76:77]
	v_add_f64 v[76:77], v[87:88], v[97:98]
	;; [unrolled: 1-line block ×4, first 2 shown]
	v_mul_f64 v[8:9], v[68:69], s[26:27]
	v_mul_f64 v[68:69], v[99:100], s[0:1]
	;; [unrolled: 1-line block ×4, first 2 shown]
	v_add_f64 v[22:23], v[22:23], v[24:25]
	v_add_f64 v[24:25], v[80:81], v[143:144]
	;; [unrolled: 1-line block ×4, first 2 shown]
	v_mul_f64 v[143:144], v[64:65], s[0:1]
	v_mul_f64 v[42:43], v[42:43], s[24:25]
	v_add_f64 v[2:3], v[104:105], v[62:63]
	v_add_f64 v[0:1], v[0:1], v[16:17]
	v_mul_f64 v[95:96], v[116:117], s[0:1]
	v_mul_f64 v[97:98], v[118:119], s[24:25]
	;; [unrolled: 1-line block ×8, first 2 shown]
	v_fma_f64 v[52:53], v[52:53], s[0:1], v[38:39]
	v_fma_f64 v[103:104], v[58:59], s[18:19], -v[10:11]
	v_fma_f64 v[38:39], v[58:59], s[16:17], -v[38:39]
	;; [unrolled: 1-line block ×3, first 2 shown]
	v_fma_f64 v[20:21], v[20:21], s[20:21], v[6:7]
	v_fma_f64 v[54:55], v[54:55], s[6:7], -v[6:7]
	v_fma_f64 v[70:71], v[89:90], s[0:1], v[56:57]
	v_fma_f64 v[46:47], v[60:61], s[18:19], -v[46:47]
	v_fma_f64 v[56:57], v[60:61], s[16:17], -v[56:57]
	;; [unrolled: 1-line block ×3, first 2 shown]
	v_fma_f64 v[89:90], v[93:94], s[20:21], v[72:73]
	v_fma_f64 v[72:73], v[4:5], s[6:7], -v[72:73]
	v_add_f64 v[6:7], v[136:137], v[76:77]
	v_add_f64 v[4:5], v[110:111], v[40:41]
	v_fma_f64 v[91:92], v[99:100], s[0:1], v[87:88]
	v_fma_f64 v[68:69], v[82:83], s[18:19], -v[68:69]
	v_fma_f64 v[82:83], v[82:83], s[16:17], -v[87:88]
	;; [unrolled: 1-line block ×3, first 2 shown]
	v_fma_f64 v[66:67], v[66:67], s[20:21], v[8:9]
	v_fma_f64 v[78:79], v[78:79], s[6:7], -v[8:9]
	v_add_f64 v[8:9], v[108:109], v[32:33]
	v_fma_f64 v[64:65], v[64:65], s[0:1], v[42:43]
	v_fma_f64 v[109:110], v[36:37], s[18:19], -v[143:144]
	v_fma_f64 v[36:37], v[36:37], s[16:17], -v[42:43]
	v_fma_f64 v[42:43], v[62:63], s[8:9], v[2:3]
	v_fma_f64 v[16:17], v[16:17], s[8:9], v[0:1]
	v_mul_f64 v[85:86], v[145:146], s[0:1]
	v_add_f64 v[10:11], v[132:133], v[24:25]
	v_mul_f64 v[153:154], v[155:156], s[6:7]
	v_fma_f64 v[93:94], v[116:117], s[0:1], v[97:98]
	v_fma_f64 v[99:100], v[120:121], s[22:23], -v[118:119]
	v_fma_f64 v[105:106], v[120:121], s[20:21], v[101:102]
	v_fma_f64 v[95:96], v[44:45], s[18:19], -v[95:96]
	v_fma_f64 v[44:45], v[44:45], s[16:17], -v[97:98]
	v_fma_f64 v[97:98], v[48:49], s[20:21], v[80:81]
	v_fma_f64 v[107:108], v[151:152], s[20:21], v[147:148]
	v_fma_f64 v[48:49], v[48:49], s[22:23], -v[149:150]
	v_fma_f64 v[28:29], v[28:29], s[6:7], -v[80:81]
	;; [unrolled: 1-line block ×3, first 2 shown]
	v_fma_f64 v[80:81], v[34:35], s[14:15], v[20:21]
	v_fma_f64 v[89:90], v[26:27], s[14:15], v[89:90]
	;; [unrolled: 1-line block ×4, first 2 shown]
	global_store_dwordx4 v[134:135], v[0:3], off
	v_fma_f64 v[0:1], v[76:77], s[8:9], v[6:7]
	v_fma_f64 v[2:3], v[40:41], s[8:9], v[4:5]
	;; [unrolled: 1-line block ×3, first 2 shown]
	v_add_f64 v[34:35], v[52:53], v[42:43]
	v_add_f64 v[40:41], v[70:71], v[16:17]
	v_fma_f64 v[12:13], v[12:13], s[6:7], -v[101:102]
	v_fma_f64 v[101:102], v[145:146], s[0:1], v[141:142]
	v_fma_f64 v[85:86], v[50:51], s[18:19], -v[85:86]
	v_fma_f64 v[50:51], v[50:51], s[16:17], -v[141:142]
	v_fma_f64 v[60:61], v[26:27], s[14:15], v[60:61]
	v_fma_f64 v[26:27], v[26:27], s[14:15], v[72:73]
	;; [unrolled: 1-line block ×3, first 2 shown]
	v_add_f64 v[52:53], v[103:104], v[42:43]
	v_add_f64 v[46:47], v[46:47], v[16:17]
	;; [unrolled: 1-line block ×4, first 2 shown]
	v_fma_f64 v[116:117], v[151:152], s[22:23], -v[153:154]
	v_fma_f64 v[72:73], v[18:19], s[14:15], v[105:106]
	v_fma_f64 v[54:55], v[74:75], s[14:15], v[87:88]
	;; [unrolled: 1-line block ×7, first 2 shown]
	v_add_f64 v[62:63], v[93:94], v[2:3]
	v_add_f64 v[70:71], v[95:96], v[2:3]
	;; [unrolled: 1-line block ×8, first 2 shown]
	v_add_f64 v[34:35], v[34:35], -v[80:81]
	v_add_f64 v[32:33], v[89:90], v[40:41]
	v_fma_f64 v[66:67], v[74:75], s[14:15], v[66:67]
	v_fma_f64 v[74:75], v[74:75], s[14:15], v[78:79]
	;; [unrolled: 1-line block ×4, first 2 shown]
	v_add_f64 v[56:57], v[91:92], v[0:1]
	v_add_f64 v[91:92], v[101:102], v[24:25]
	;; [unrolled: 1-line block ×4, first 2 shown]
	v_add_f64 v[18:19], v[38:39], -v[20:21]
	v_add_f64 v[16:17], v[26:27], v[42:43]
	v_add_f64 v[22:23], v[20:21], v[38:39]
	v_add_f64 v[20:21], v[42:43], -v[26:27]
	v_add_f64 v[26:27], v[52:53], -v[58:59]
	v_add_f64 v[24:25], v[60:61], v[46:47]
	v_fma_f64 v[103:104], v[14:15], s[14:15], v[116:117]
	v_add_f64 v[14:15], v[58:59], v[52:53]
	v_add_f64 v[12:13], v[46:47], -v[60:61]
	v_mad_u64_u32 v[175:176], null, s2, v140, 0
	v_add_f64 v[68:69], v[68:69], v[0:1]
	v_add_f64 v[0:1], v[40:41], -v[89:90]
	global_store_dwordx4 v[122:123], v[32:35], off
	global_store_dwordx4 v[124:125], v[24:27], off
	;; [unrolled: 1-line block ×5, first 2 shown]
	v_lshlrev_b64 v[15:16], 4, v[113:114]
	v_mov_b32_e32 v14, v176
	v_mad_u64_u32 v[17:18], null, s2, v84, 0
	v_add_f64 v[46:47], v[48:49], -v[74:75]
	v_add_f64 v[44:45], v[78:79], v[82:83]
	v_add_f64 v[50:51], v[74:75], v[48:49]
	v_add_f64 v[48:49], v[82:83], -v[78:79]
	v_add_f64 v[82:83], v[91:92], -v[87:88]
	v_add_f64 v[80:81], v[97:98], v[93:94]
	v_add_co_u32 v12, vcc_lo, v115, v179
	v_add_nc_u32_e32 v21, 0x70, v138
	v_add_co_ci_u32_e32 v13, vcc_lo, v139, v180, vcc_lo
	v_mad_u64_u32 v[19:20], null, s3, v140, v[14:15]
	v_add_co_u32 v14, vcc_lo, v115, v15
	v_add_co_ci_u32_e32 v15, vcc_lo, v139, v16, vcc_lo
	v_mov_b32_e32 v16, v18
	v_lshrrev_b32_e32 v20, 3, v21
	v_mov_b32_e32 v176, v19
	v_add_nc_u32_e32 v22, 0x2a0, v112
	global_store_dwordx4 v[30:31], v[0:3], off
	global_store_dwordx4 v[12:13], v[8:11], off
	;; [unrolled: 1-line block ×3, first 2 shown]
	v_mad_u64_u32 v[18:19], null, s3, v84, v[16:17]
	v_mul_hi_u32 v16, 0x18618619, v20
	v_mad_u64_u32 v[19:20], null, s2, v22, 0
	v_add_f64 v[40:41], v[70:71], -v[76:77]
	v_add_f64 v[52:53], v[76:77], v[70:71]
	v_add_f64 v[78:79], v[85:86], -v[99:100]
	v_add_f64 v[76:77], v[103:104], v[95:96]
	v_lshlrev_b64 v[0:1], 4, v[175:176]
	v_lshrrev_b32_e32 v14, 1, v16
	v_mov_b32_e32 v2, v20
	v_add_nc_u32_e32 v23, 0x348, v112
	v_add_f64 v[38:39], v[66:67], v[56:57]
	v_add_f64 v[36:37], v[62:63], -v[72:73]
	v_mul_lo_u32 v12, 0xa8, v14
	v_mad_u64_u32 v[2:3], null, s3, v22, v[2:3]
	v_add_f64 v[58:59], v[56:57], -v[66:67]
	v_add_f64 v[56:57], v[72:73], v[62:63]
	v_add_f64 v[74:75], v[28:29], v[101:102]
	v_add_f64 v[72:73], v[107:108], -v[105:106]
	v_lshlrev_b64 v[10:11], 4, v[17:18]
	v_sub_nc_u32_e32 v3, v21, v12
	v_add_nc_u32_e32 v17, 0x3f0, v112
	v_mad_u64_u32 v[8:9], null, s2, v23, 0
	v_add_co_u32 v0, vcc_lo, v115, v0
	v_mad_u64_u32 v[14:15], null, 0x498, v14, v[3:4]
	v_add_co_ci_u32_e32 v1, vcc_lo, v139, v1, vcc_lo
	v_mad_u64_u32 v[12:13], null, s2, v17, 0
	v_add_co_u32 v10, vcc_lo, v115, v10
	v_mov_b32_e32 v20, v2
	v_mad_u64_u32 v[2:3], null, s2, v14, 0
	v_mad_u64_u32 v[15:16], null, s3, v23, v[9:10]
	v_add_f64 v[42:43], v[54:55], v[68:69]
	v_add_f64 v[54:55], v[68:69], -v[54:55]
	v_add_f64 v[70:71], v[101:102], -v[28:29]
	v_add_f64 v[68:69], v[105:106], v[107:108]
	global_store_dwordx4 v[0:1], v[76:79], off
	v_mov_b32_e32 v0, v13
	v_add_f64 v[66:67], v[99:100], v[85:86]
	v_add_f64 v[64:65], v[95:96], -v[103:104]
	v_add_co_ci_u32_e32 v11, vcc_lo, v139, v11, vcc_lo
	v_mad_u64_u32 v[0:1], null, s3, v17, v[0:1]
	v_mov_b32_e32 v9, v15
	v_mov_b32_e32 v1, v3
	global_store_dwordx4 v[10:11], v[72:75], off
	v_lshlrev_b64 v[10:11], 4, v[19:20]
	v_add_nc_u32_e32 v18, 0xa8, v14
	v_lshlrev_b64 v[8:9], 4, v[8:9]
	v_mad_u64_u32 v[15:16], null, s3, v14, v[1:2]
	v_add_f64 v[62:63], v[87:88], v[91:92]
	v_add_co_u32 v10, vcc_lo, v115, v10
	v_mad_u64_u32 v[16:17], null, s2, v18, 0
	v_add_f64 v[60:61], v[93:94], -v[97:98]
	v_add_co_ci_u32_e32 v11, vcc_lo, v139, v11, vcc_lo
	v_mov_b32_e32 v13, v0
	v_add_co_u32 v0, vcc_lo, v115, v8
	v_add_co_ci_u32_e32 v1, vcc_lo, v139, v9, vcc_lo
	v_mov_b32_e32 v3, v15
	global_store_dwordx4 v[10:11], v[68:71], off
	v_lshlrev_b64 v[9:10], 4, v[12:13]
	v_mov_b32_e32 v8, v17
	global_store_dwordx4 v[0:1], v[64:67], off
	v_lshlrev_b64 v[0:1], 4, v[2:3]
	v_add_nc_u32_e32 v11, 0x1f8, v14
	v_add_nc_u32_e32 v12, 0x2a0, v14
	v_mad_u64_u32 v[2:3], null, s3, v18, v[8:9]
	v_add_co_u32 v8, vcc_lo, v115, v9
	v_add_co_ci_u32_e32 v9, vcc_lo, v139, v10, vcc_lo
	v_add_co_u32 v0, vcc_lo, v115, v0
	v_add_nc_u32_e32 v10, 0x150, v14
	v_add_co_ci_u32_e32 v1, vcc_lo, v139, v1, vcc_lo
	v_mov_b32_e32 v17, v2
	global_store_dwordx4 v[8:9], v[60:63], off
	v_mad_u64_u32 v[2:3], null, s2, v10, 0
	global_store_dwordx4 v[0:1], v[4:7], off
	v_mad_u64_u32 v[4:5], null, s2, v11, 0
	v_mad_u64_u32 v[6:7], null, s2, v12, 0
	v_lshlrev_b64 v[0:1], 4, v[16:17]
	v_add_nc_u32_e32 v15, 0x348, v14
	v_add_nc_u32_e32 v16, 0x3f0, v14
	v_mad_u64_u32 v[8:9], null, s3, v10, v[3:4]
	v_mov_b32_e32 v3, v7
	v_mad_u64_u32 v[9:10], null, s3, v11, v[5:6]
	v_add_co_u32 v0, vcc_lo, v115, v0
	v_mad_u64_u32 v[10:11], null, s2, v15, 0
	v_add_co_ci_u32_e32 v1, vcc_lo, v139, v1, vcc_lo
	v_mad_u64_u32 v[12:13], null, s3, v12, v[3:4]
	v_mov_b32_e32 v3, v8
	global_store_dwordx4 v[0:1], v[56:59], off
	v_mad_u64_u32 v[13:14], null, s2, v16, 0
	v_mov_b32_e32 v0, v11
	v_lshlrev_b64 v[1:2], 4, v[2:3]
	v_mov_b32_e32 v5, v9
	v_mov_b32_e32 v7, v12
	v_mad_u64_u32 v[8:9], null, s3, v15, v[0:1]
	v_mov_b32_e32 v0, v14
	v_add_co_u32 v1, vcc_lo, v115, v1
	v_lshlrev_b64 v[3:4], 4, v[4:5]
	v_lshlrev_b64 v[5:6], 4, v[6:7]
	v_add_co_ci_u32_e32 v2, vcc_lo, v139, v2, vcc_lo
	v_mad_u64_u32 v[14:15], null, s3, v16, v[0:1]
	v_mov_b32_e32 v11, v8
	v_add_co_u32 v3, vcc_lo, v115, v3
	v_add_co_ci_u32_e32 v4, vcc_lo, v139, v4, vcc_lo
	v_lshlrev_b64 v[7:8], 4, v[10:11]
	v_add_co_u32 v5, vcc_lo, v115, v5
	v_lshlrev_b64 v[9:10], 4, v[13:14]
	v_add_co_ci_u32_e32 v6, vcc_lo, v139, v6, vcc_lo
	v_add_co_u32 v7, vcc_lo, v115, v7
	v_add_co_ci_u32_e32 v8, vcc_lo, v139, v8, vcc_lo
	v_add_co_u32 v9, vcc_lo, v115, v9
	v_add_co_ci_u32_e32 v10, vcc_lo, v139, v10, vcc_lo
	global_store_dwordx4 v[1:2], v[52:55], off
	global_store_dwordx4 v[3:4], v[48:51], off
	;; [unrolled: 1-line block ×5, first 2 shown]
.LBB0_37:
	s_endpgm
	.section	.rodata,"a",@progbits
	.p2align	6, 0x0
	.amdhsa_kernel fft_rtc_fwd_len1176_factors_2_2_2_3_7_7_wgs_56_tpt_56_halfLds_dp_op_CI_CI_sbrr_dirReg
		.amdhsa_group_segment_fixed_size 0
		.amdhsa_private_segment_fixed_size 0
		.amdhsa_kernarg_size 104
		.amdhsa_user_sgpr_count 6
		.amdhsa_user_sgpr_private_segment_buffer 1
		.amdhsa_user_sgpr_dispatch_ptr 0
		.amdhsa_user_sgpr_queue_ptr 0
		.amdhsa_user_sgpr_kernarg_segment_ptr 1
		.amdhsa_user_sgpr_dispatch_id 0
		.amdhsa_user_sgpr_flat_scratch_init 0
		.amdhsa_user_sgpr_private_segment_size 0
		.amdhsa_wavefront_size32 1
		.amdhsa_uses_dynamic_stack 0
		.amdhsa_system_sgpr_private_segment_wavefront_offset 0
		.amdhsa_system_sgpr_workgroup_id_x 1
		.amdhsa_system_sgpr_workgroup_id_y 0
		.amdhsa_system_sgpr_workgroup_id_z 0
		.amdhsa_system_sgpr_workgroup_info 0
		.amdhsa_system_vgpr_workitem_id 0
		.amdhsa_next_free_vgpr 190
		.amdhsa_next_free_sgpr 31
		.amdhsa_reserve_vcc 1
		.amdhsa_reserve_flat_scratch 0
		.amdhsa_float_round_mode_32 0
		.amdhsa_float_round_mode_16_64 0
		.amdhsa_float_denorm_mode_32 3
		.amdhsa_float_denorm_mode_16_64 3
		.amdhsa_dx10_clamp 1
		.amdhsa_ieee_mode 1
		.amdhsa_fp16_overflow 0
		.amdhsa_workgroup_processor_mode 1
		.amdhsa_memory_ordered 1
		.amdhsa_forward_progress 0
		.amdhsa_shared_vgpr_count 0
		.amdhsa_exception_fp_ieee_invalid_op 0
		.amdhsa_exception_fp_denorm_src 0
		.amdhsa_exception_fp_ieee_div_zero 0
		.amdhsa_exception_fp_ieee_overflow 0
		.amdhsa_exception_fp_ieee_underflow 0
		.amdhsa_exception_fp_ieee_inexact 0
		.amdhsa_exception_int_div_zero 0
	.end_amdhsa_kernel
	.text
.Lfunc_end0:
	.size	fft_rtc_fwd_len1176_factors_2_2_2_3_7_7_wgs_56_tpt_56_halfLds_dp_op_CI_CI_sbrr_dirReg, .Lfunc_end0-fft_rtc_fwd_len1176_factors_2_2_2_3_7_7_wgs_56_tpt_56_halfLds_dp_op_CI_CI_sbrr_dirReg
                                        ; -- End function
	.section	.AMDGPU.csdata,"",@progbits
; Kernel info:
; codeLenInByte = 17076
; NumSgprs: 33
; NumVgprs: 190
; ScratchSize: 0
; MemoryBound: 1
; FloatMode: 240
; IeeeMode: 1
; LDSByteSize: 0 bytes/workgroup (compile time only)
; SGPRBlocks: 4
; VGPRBlocks: 23
; NumSGPRsForWavesPerEU: 33
; NumVGPRsForWavesPerEU: 190
; Occupancy: 5
; WaveLimiterHint : 1
; COMPUTE_PGM_RSRC2:SCRATCH_EN: 0
; COMPUTE_PGM_RSRC2:USER_SGPR: 6
; COMPUTE_PGM_RSRC2:TRAP_HANDLER: 0
; COMPUTE_PGM_RSRC2:TGID_X_EN: 1
; COMPUTE_PGM_RSRC2:TGID_Y_EN: 0
; COMPUTE_PGM_RSRC2:TGID_Z_EN: 0
; COMPUTE_PGM_RSRC2:TIDIG_COMP_CNT: 0
	.text
	.p2alignl 6, 3214868480
	.fill 48, 4, 3214868480
	.type	__hip_cuid_49c50468b7ba7259,@object ; @__hip_cuid_49c50468b7ba7259
	.section	.bss,"aw",@nobits
	.globl	__hip_cuid_49c50468b7ba7259
__hip_cuid_49c50468b7ba7259:
	.byte	0                               ; 0x0
	.size	__hip_cuid_49c50468b7ba7259, 1

	.ident	"AMD clang version 19.0.0git (https://github.com/RadeonOpenCompute/llvm-project roc-6.4.0 25133 c7fe45cf4b819c5991fe208aaa96edf142730f1d)"
	.section	".note.GNU-stack","",@progbits
	.addrsig
	.addrsig_sym __hip_cuid_49c50468b7ba7259
	.amdgpu_metadata
---
amdhsa.kernels:
  - .args:
      - .actual_access:  read_only
        .address_space:  global
        .offset:         0
        .size:           8
        .value_kind:     global_buffer
      - .offset:         8
        .size:           8
        .value_kind:     by_value
      - .actual_access:  read_only
        .address_space:  global
        .offset:         16
        .size:           8
        .value_kind:     global_buffer
      - .actual_access:  read_only
        .address_space:  global
        .offset:         24
        .size:           8
        .value_kind:     global_buffer
      - .actual_access:  read_only
        .address_space:  global
        .offset:         32
        .size:           8
        .value_kind:     global_buffer
      - .offset:         40
        .size:           8
        .value_kind:     by_value
      - .actual_access:  read_only
        .address_space:  global
        .offset:         48
        .size:           8
        .value_kind:     global_buffer
      - .actual_access:  read_only
        .address_space:  global
        .offset:         56
        .size:           8
        .value_kind:     global_buffer
      - .offset:         64
        .size:           4
        .value_kind:     by_value
      - .actual_access:  read_only
        .address_space:  global
        .offset:         72
        .size:           8
        .value_kind:     global_buffer
      - .actual_access:  read_only
        .address_space:  global
        .offset:         80
        .size:           8
        .value_kind:     global_buffer
      - .actual_access:  read_only
        .address_space:  global
        .offset:         88
        .size:           8
        .value_kind:     global_buffer
      - .actual_access:  write_only
        .address_space:  global
        .offset:         96
        .size:           8
        .value_kind:     global_buffer
    .group_segment_fixed_size: 0
    .kernarg_segment_align: 8
    .kernarg_segment_size: 104
    .language:       OpenCL C
    .language_version:
      - 2
      - 0
    .max_flat_workgroup_size: 56
    .name:           fft_rtc_fwd_len1176_factors_2_2_2_3_7_7_wgs_56_tpt_56_halfLds_dp_op_CI_CI_sbrr_dirReg
    .private_segment_fixed_size: 0
    .sgpr_count:     33
    .sgpr_spill_count: 0
    .symbol:         fft_rtc_fwd_len1176_factors_2_2_2_3_7_7_wgs_56_tpt_56_halfLds_dp_op_CI_CI_sbrr_dirReg.kd
    .uniform_work_group_size: 1
    .uses_dynamic_stack: false
    .vgpr_count:     190
    .vgpr_spill_count: 0
    .wavefront_size: 32
    .workgroup_processor_mode: 1
amdhsa.target:   amdgcn-amd-amdhsa--gfx1030
amdhsa.version:
  - 1
  - 2
...

	.end_amdgpu_metadata
